;; amdgpu-corpus repo=zjin-lcf/HeCBench kind=compiled arch=gfx1030 opt=O3
	.amdgcn_target "amdgcn-amd-amdhsa--gfx1030"
	.amdhsa_code_object_version 6
	.text
	.protected	_Z17kernel_initializeP15HIP_vector_typeIsLj2EEPsPKtiPS_IfLj2EEPKf14ConstMemParams ; -- Begin function _Z17kernel_initializeP15HIP_vector_typeIsLj2EEPsPKtiPS_IfLj2EEPKf14ConstMemParams
	.globl	_Z17kernel_initializeP15HIP_vector_typeIsLj2EEPsPKtiPS_IfLj2EEPKf14ConstMemParams
	.p2align	8
	.type	_Z17kernel_initializeP15HIP_vector_typeIsLj2EEPsPKtiPS_IfLj2EEPKf14ConstMemParams,@function
_Z17kernel_initializeP15HIP_vector_typeIsLj2EEPsPKtiPS_IfLj2EEPKf14ConstMemParams: ; @_Z17kernel_initializeP15HIP_vector_typeIsLj2EEPsPKtiPS_IfLj2EEPKf14ConstMemParams
; %bb.0:
	s_clause 0x1
	s_load_dword s0, s[4:5], 0x7c4
	s_load_dword s1, s[4:5], 0x790
	s_add_u32 s34, s4, 48
	s_addc_u32 s35, s5, 0
	s_load_dwordx4 s[28:31], s[4:5], 0x0
	s_waitcnt lgkmcnt(0)
	s_and_b32 s0, s0, 0xffff
	v_mad_u64_u32 v[4:5], null, s6, s0, v[0:1]
	s_load_dword s6, s[4:5], 0x764
	v_and_b32_e32 v5, 0xffffffe0, v4
	v_cmp_gt_i32_e32 vcc_lo, s1, v5
	v_cndmask_b32_e64 v1, 15, 5, vcc_lo
	v_cndmask_b32_e64 v0, 11, 0, vcc_lo
	;; [unrolled: 1-line block ×3, first 2 shown]
	v_lshlrev_b32_e32 v2, 2, v1
	v_add_nc_u32_e32 v6, 1, v1
	global_load_dword v2, v2, s[34:35] offset:1848
	s_waitcnt lgkmcnt(0)
	s_cmp_lt_i32 s6, 2
	s_waitcnt vmcnt(0)
	v_cmp_gt_i32_e32 vcc_lo, v2, v5
	v_cndmask_b32_e32 v0, v6, v0, vcc_lo
	v_cndmask_b32_e32 v1, v3, v1, vcc_lo
	v_add_nc_u16 v2, v0, v1
	v_lshrrev_b16 v2, 1, v2
	v_and_b32_e32 v2, 0xffff, v2
	v_lshlrev_b32_e32 v3, 2, v2
	v_add_nc_u32_e32 v6, 1, v2
	global_load_dword v3, v3, s[34:35] offset:1848
	s_waitcnt vmcnt(0)
	v_cmp_gt_i32_e32 vcc_lo, v3, v5
	v_cndmask_b32_e32 v3, v6, v0, vcc_lo
	v_cndmask_b32_e32 v2, v1, v2, vcc_lo
	v_add_nc_u32_e32 v0, v3, v2
	v_lshrrev_b32_e32 v6, 1, v0
	v_lshlrev_b32_e32 v0, 2, v6
	global_load_dword v7, v0, s[34:35] offset:1848
	s_clause 0x2
	s_load_dword s7, s[4:5], 0x18
	s_load_dwordx2 s[8:9], s[4:5], 0x10
	s_load_dwordx4 s[0:3], s[4:5], 0x20
	s_waitcnt lgkmcnt(0)
	v_lshl_add_u32 v0, s7, 14, v4
	v_ashrrev_i32_e32 v1, 31, v0
	v_lshlrev_b64 v[0:1], 1, v[0:1]
	v_add_co_u32 v0, vcc_lo, s8, v0
	v_add_co_ci_u32_e64 v1, null, s9, v1, vcc_lo
	global_load_ushort v8, v[0:1], off
	v_add_nc_u32_e32 v0, 1, v6
	s_waitcnt vmcnt(1)
	v_cmp_gt_i32_e32 vcc_lo, v7, v5
	v_cndmask_b32_e32 v7, v0, v3, vcc_lo
	v_cndmask_b32_e32 v6, v2, v6, vcc_lo
	v_add_co_u32 v2, s7, v7, v6
	v_add_co_ci_u32_e64 v3, null, 0, 0, s7
	v_lshrrev_b64 v[0:1], 1, v[2:3]
	v_alignbit_b32 v2, v3, v2, 1
	v_add_nc_u32_e32 v3, 1, v2
	v_lshlrev_b64 v[0:1], 2, v[0:1]
	v_add_co_u32 v0, vcc_lo, s34, v0
	v_add_co_ci_u32_e64 v1, null, s35, v1, vcc_lo
	global_load_dword v9, v[0:1], off offset:1848
	s_waitcnt vmcnt(1)
	v_lshlrev_b32_e32 v0, 3, v8
	global_load_dwordx2 v[0:1], v0, s[0:1]
	s_waitcnt vmcnt(1)
	v_cmp_gt_i32_e32 vcc_lo, v9, v5
	v_cndmask_b32_e32 v3, v3, v7, vcc_lo
	v_cndmask_b32_e32 v2, v6, v2, vcc_lo
	v_add_nc_u32_e32 v2, v3, v2
	s_cbranch_scc1 .LBB0_9
; %bb.1:
	s_waitcnt vmcnt(0)
	v_mov_b32_e32 v9, v0
	v_mov_b32_e32 v7, v1
	s_cmp_eq_u32 s6, 2
	s_cbranch_scc0 .LBB0_10
; %bb.2:
	v_lshrrev_b32_e32 v3, 1, v2
	v_mul_f32_e32 v7, 0.5, v1
	v_mul_lo_u16 v5, 0xab, v3
	v_lshrrev_b16 v5, 9, v5
	v_mul_lo_u16 v5, v5, 3
	v_sub_nc_u16 v3, v3, v5
	v_mov_b32_e32 v5, 1
	v_cmp_gt_i16_sdwa s0, v3, v5 src0_sel:BYTE_0 src1_sel:DWORD
	s_and_saveexec_b32 s1, s0
	s_xor_b32 s0, exec_lo, s1
; %bb.3:
	v_add_f32_e32 v7, 0.5, v7
                                        ; implicit-def: $vgpr3
; %bb.4:
	s_or_saveexec_b32 s0, s0
	v_mul_f32_e32 v9, 0.5, v0
	s_xor_b32 exec_lo, exec_lo, s0
	s_cbranch_execz .LBB0_8
; %bb.5:
	v_mov_b32_e32 v5, 1
	v_cmp_eq_u16_sdwa s4, v3, v5 src0_sel:BYTE_0 src1_sel:DWORD
	s_and_saveexec_b32 s1, s4
; %bb.6:
	v_add_f32_e32 v9, 0.5, v9
; %bb.7:
	s_or_b32 exec_lo, exec_lo, s1
.LBB0_8:
	s_or_b32 exec_lo, exec_lo, s0
	s_cbranch_execz .LBB0_11
	s_branch .LBB0_20
.LBB0_9:
                                        ; implicit-def: $vgpr9
                                        ; implicit-def: $vgpr7
	s_branch .LBB0_11
.LBB0_10:
	s_cbranch_execnz .LBB0_20
.LBB0_11:
	s_cmp_lg_u32 s6, 1
	s_cbranch_scc1 .LBB0_19
; %bb.12:
	v_mul_hi_i32 v3, 0x55555556, v4
	s_waitcnt vmcnt(0)
	v_mul_f32_e32 v1, 0.5, v1
	s_mov_b32 s0, exec_lo
	v_lshrrev_b32_e32 v5, 31, v3
	v_add_nc_u32_e32 v3, v3, v5
	v_lshl_add_u32 v3, v3, 1, v3
	v_sub_nc_u32_e32 v3, v4, v3
	v_cmpx_lt_i32_e32 1, v3
	s_xor_b32 s0, exec_lo, s0
; %bb.13:
	v_add_f32_e32 v1, 0.5, v1
                                        ; implicit-def: $vgpr3
; %bb.14:
	s_or_saveexec_b32 s0, s0
	v_mul_f32_e32 v0, 0.5, v0
	s_xor_b32 exec_lo, exec_lo, s0
	s_cbranch_execz .LBB0_18
; %bb.15:
	s_mov_b32 s1, exec_lo
	v_cmpx_eq_u32_e32 1, v3
; %bb.16:
	v_add_f32_e32 v0, 0.5, v0
; %bb.17:
	s_or_b32 exec_lo, exec_lo, s1
.LBB0_18:
	s_or_b32 exec_lo, exec_lo, s0
.LBB0_19:
	s_waitcnt vmcnt(0)
	v_mov_b32_e32 v7, v1
	v_mov_b32_e32 v9, v0
.LBB0_20:
	v_lshrrev_b32_e32 v5, 1, v2
	v_mov_b32_e32 v8, 0
	s_mov_b32 s33, 0x7fffff
	s_mov_b32 s38, 0x37d75334
	;; [unrolled: 1-line block ×3, first 2 shown]
	v_mad_u64_u32 v[10:11], null, v5, 24, s[34:35]
	v_mov_b32_e32 v6, v8
	s_mov_b32 s39, 0xbc8cedd3
	s_mov_b32 s37, 0
	s_clause 0x1
	global_load_dwordx2 v[13:14], v[10:11], off offset:896
	global_load_dwordx4 v[0:3], v[10:11], off offset:880
	s_mov_b32 s36, s37
	s_waitcnt vmcnt(0)
	v_mul_f32_e32 v12, v7, v1
	v_fmac_f32_e32 v12, v9, v0
	v_mul_f32_e32 v0, v7, v13
	v_add_f32_e32 v15, v2, v12
	v_fmac_f32_e32 v0, v9, v3
	v_cmp_class_f32_e64 s1, v15, 0x204
	v_add_f32_e32 v3, v14, v0
	v_and_b32_e32 v38, 0x7fffffff, v15
	v_mul_f32_e32 v100, 0x40490fdb, v15
	v_cmp_gt_f32_e64 s16, 0x48000000, |v15|
	v_cmp_class_f32_e64 s17, v15, 0x1f8
	v_mul_f32_e32 v20, v3, v3
	v_and_or_b32 v31, v38, s33, 0x800000
	v_and_b32_e32 v42, 0x7fffffff, v3
	v_and_b32_e32 v101, 0x7fffffff, v100
	v_mul_f32_e32 v109, 0x40490fdb, v3
	v_fma_f32 v0, v15, v15, v20
	v_mad_u64_u32 v[22:23], null, 0xfe5163ab, v31, 0
	v_mul_f32_e32 v77, 0x40400000, v3
	v_and_b32_e32 v110, 0x7fffffff, v109
	v_cmp_gt_f32_e32 vcc_lo, 0xf800000, v0
	v_mul_f32_e32 v7, 0x4f800000, v0
	v_cmp_gt_f32_e64 s18, 0x48000000, |v3|
	v_and_b32_e32 v78, 0x7fffffff, v77
	v_cmp_class_f32_e64 s19, v3, 0x1f8
	v_cmp_gt_f32_e64 s22, 0x48000000, |v100|
	v_cndmask_b32_e32 v7, v0, v7, vcc_lo
	v_cmp_class_f32_e64 s23, v100, 0x1f8
	v_cmp_gt_f32_e64 s24, 0x48000000, |v109|
	v_cmp_class_f32_e64 s25, v109, 0x1f8
	v_cmp_gt_f32_e64 s15, 0x48000000, |v77|
	v_sqrt_f32_e32 v9, v7
	v_cmp_class_f32_e64 s11, v77, 0x1f8
	v_add_nc_u32_e32 v12, -1, v9
	v_fma_f32 v16, -v12, v9, v7
	v_cmp_ge_f32_e64 s0, 0, v16
	v_add_nc_u32_e32 v16, 1, v9
	v_cndmask_b32_e64 v12, v9, v12, s0
	v_fma_f32 v9, -v16, v9, v7
	v_cmp_lt_f32_e64 s0, 0, v9
	v_cndmask_b32_e64 v9, v12, v16, s0
	s_mov_b32 s0, 0x3b2d2a58
	v_mul_f32_e32 v12, 0x37800000, v9
	v_cndmask_b32_e32 v9, v9, v12, vcc_lo
	v_cmp_class_f32_e64 vcc_lo, v7, 0x260
	v_cndmask_b32_e32 v16, v9, v7, vcc_lo
	v_div_scale_f32 v7, null, v16, v16, 1.0
	v_cmp_gt_f32_e64 s7, 0x48000000, |v16|
	v_cmp_class_f32_e64 s9, v16, 0x1f8
	v_rcp_f32_e32 v9, v7
	v_fma_f32 v12, -v7, v9, 1.0
	v_fmac_f32_e32 v9, v12, v9
	v_div_scale_f32 v12, vcc_lo, 1.0, v16, 1.0
	v_mul_f32_e32 v17, v12, v9
	v_fma_f32 v18, -v7, v17, v12
	v_fmac_f32_e32 v17, v18, v9
	v_lshlrev_b64 v[18:19], 4, v[5:6]
	v_fma_f32 v7, -v7, v17, v12
	v_div_fmas_f32 v7, v7, v9, v17
	v_max_f32_e64 v9, |v3|, |v15|
	v_cmp_gt_f32_e64 vcc_lo, |v15|, |v3|
	v_div_fixup_f32 v35, v7, v16, 1.0
	v_frexp_exp_i32_f32_e32 v12, v9
	v_frexp_mant_f32_e32 v9, v9
	v_min_f32_e64 v7, |v3|, |v15|
	v_rcp_f32_e32 v9, v9
	v_frexp_exp_i32_f32_e32 v17, v7
	v_frexp_mant_f32_e32 v7, v7
	v_mul_f32_e32 v7, v7, v9
	v_sub_nc_u32_e32 v9, v17, v12
	v_ldexp_f32 v7, v7, v9
	v_mul_f32_e32 v9, v7, v7
	v_fmaak_f32 v12, s0, v9, 0xbc7a590c
	v_cmp_gt_i32_e64 s0, 0, v3
	v_fmaak_f32 v12, v9, v12, 0x3d29fb3f
	v_fmaak_f32 v12, v9, v12, 0xbd97d4d7
	;; [unrolled: 1-line block ×6, first 2 shown]
	v_mul_f32_e32 v9, v9, v12
	v_fmac_f32_e32 v7, v7, v9
	v_sub_f32_e32 v9, 0x3fc90fdb, v7
	v_cndmask_b32_e32 v7, v7, v9, vcc_lo
	v_cmp_gt_f32_e32 vcc_lo, 0, v3
	v_sub_f32_e32 v9, 0x40490fdb, v7
	v_cndmask_b32_e32 v7, v7, v9, vcc_lo
	v_cndmask_b32_e64 v9, 0, 0x40490fdb, s0
	v_cmp_eq_f32_e64 s0, 0, v15
	v_cndmask_b32_e64 v7, v7, v9, s0
	v_mov_b32_e32 v9, 0x4016cbe4
	v_cmp_class_f32_e64 s0, v3, 0x204
	v_cndmask_b32_e32 v9, 0x3f490fdb, v9, vcc_lo
	s_and_b32 vcc_lo, s1, s0
	v_cndmask_b32_e32 v7, v7, v9, vcc_lo
	v_cmp_o_f32_e32 vcc_lo, v3, v15
	v_cndmask_b32_e32 v27, 0x7fc00000, v7, vcc_lo
	v_and_b32_e32 v7, 0x3fffff, v4
	v_add_co_u32 v18, vcc_lo, v10, v18
	v_add_co_ci_u32_e64 v19, null, v11, v19, vcc_lo
	v_lshlrev_b32_e32 v7, 2, v7
	v_and_b32_e32 v49, 0x7fffffff, v27
	v_bfi_b32 v17, 0x7fffffff, v27, v15
	v_cmp_gt_f32_e64 s20, 0x48000000, |v27|
	v_cmp_class_f32_e64 s21, v27, 0x1f8
	v_add_co_u32 v9, s0, s2, v7
	v_add_co_ci_u32_e64 v10, null, s3, 0, s0
	s_load_dword s0, s[34:35], 0x730
	v_and_or_b32 v36, v49, s33, 0x800000
	v_add_f32_e32 v79, v16, v17
	v_and_b32_e32 v80, 0x7fffffff, v79
	v_cmp_gt_f32_e64 s12, 0x48000000, |v79|
	v_cmp_class_f32_e64 s14, v79, 0x1f8
	v_and_or_b32 v57, v80, s33, 0x800000
	s_waitcnt lgkmcnt(0)
	v_lshl_add_u32 v7, s0, 7, v4
	v_and_b32_e32 v7, 0x3fffff, v7
	v_lshlrev_b32_e32 v7, 2, v7
	v_add_co_u32 v11, s0, s2, v7
	v_lshrrev_b32_e32 v7, 23, v38
	v_add_co_ci_u32_e64 v12, null, s3, 0, s0
	v_add_nc_u32_e32 v7, 0xffffff88, v7
	v_cmp_lt_u32_e32 vcc_lo, 63, v7
	v_cndmask_b32_e64 v21, 0, 0xffffffc0, vcc_lo
	v_add_nc_u32_e32 v7, v21, v7
	v_cmp_lt_u32_e64 s0, 31, v7
	v_cndmask_b32_e64 v21, 0, 0xffffffe0, s0
	v_add_nc_u32_e32 v7, v21, v7
	v_cmp_lt_u32_e64 s1, 31, v7
	v_cndmask_b32_e64 v21, 0, 0xffffffe0, s1
	v_add_nc_u32_e32 v21, v21, v7
	v_mov_b32_e32 v7, v23
	v_cmp_eq_u32_e64 s2, 0, v21
	v_mad_u64_u32 v[23:24], null, 0x3c439041, v31, v[7:8]
	v_sub_nc_u32_e32 v21, 32, v21
	v_mov_b32_e32 v7, v24
	v_mad_u64_u32 v[24:25], null, 0xdb629599, v31, v[7:8]
	v_mov_b32_e32 v7, v25
	v_cndmask_b32_e32 v22, v24, v22, vcc_lo
	v_mad_u64_u32 v[25:26], null, 0xf534ddc0, v31, v[7:8]
	v_mov_b32_e32 v7, v26
	v_cndmask_b32_e32 v23, v25, v23, vcc_lo
	v_mad_u64_u32 v[28:29], null, 0xfc2757d1, v31, v[7:8]
	v_cndmask_b32_e64 v22, v23, v22, s0
	v_mov_b32_e32 v7, v29
	v_mad_u64_u32 v[29:30], null, 0x4e441529, v31, v[7:8]
	v_mov_b32_e32 v7, v30
	v_cndmask_b32_e32 v26, v29, v25, vcc_lo
	v_mad_u64_u32 v[30:31], null, 0xa2f9836e, v31, v[7:8]
	v_cndmask_b32_e32 v7, v30, v28, vcc_lo
	v_cndmask_b32_e32 v29, v31, v29, vcc_lo
	;; [unrolled: 1-line block ×3, first 2 shown]
	v_cndmask_b32_e64 v30, v7, v26, s0
	v_cndmask_b32_e64 v7, v29, v7, s0
	;; [unrolled: 1-line block ×8, first 2 shown]
	v_alignbit_b32 v30, v7, v29, v21
	v_alignbit_b32 v28, v29, v26, v21
	;; [unrolled: 1-line block ×3, first 2 shown]
	v_cndmask_b32_e64 v7, v30, v7, s2
	v_cndmask_b32_e64 v28, v28, v29, s2
	;; [unrolled: 1-line block ×3, first 2 shown]
	v_bfe_u32 v31, v7, 29, 1
	v_alignbit_b32 v29, v7, v28, 30
	v_alignbit_b32 v23, v28, v21, 30
	;; [unrolled: 1-line block ×3, first 2 shown]
	v_lshrrev_b32_e32 v30, 29, v7
	v_sub_nc_u32_e32 v32, 0, v31
	v_lshrrev_b32_e32 v7, 30, v7
	v_xor_b32_e32 v29, v29, v32
	v_xor_b32_e32 v23, v23, v32
	;; [unrolled: 1-line block ×3, first 2 shown]
	v_add_nc_u32_e32 v40, v31, v7
	v_mul_f32_e64 v7, 0x3f22f983, |v15|
	v_ffbh_u32_e32 v24, v29
	v_and_or_b32 v31, v42, s33, 0x800000
	v_rndne_f32_e32 v7, v7
	v_min_u32_e32 v24, 32, v24
	v_fma_f32 v41, 0xbfc90fda, v7, |v15|
	v_sub_nc_u32_e32 v25, 31, v24
	v_cvt_i32_f32_e32 v43, v7
	v_fmac_f32_e32 v41, 0xb3a22168, v7
	v_alignbit_b32 v26, v29, v23, v25
	v_alignbit_b32 v21, v23, v21, v25
	v_fmac_f32_e32 v41, 0xa7c234c4, v7
	v_lshrrev_b32_e32 v7, 23, v42
	v_alignbit_b32 v22, v26, v21, 9
	v_add_nc_u32_e32 v7, 0xffffff88, v7
	v_ffbh_u32_e32 v23, v22
	v_cmp_lt_u32_e32 vcc_lo, 63, v7
	v_min_u32_e32 v23, 32, v23
	v_not_b32_e32 v25, v23
	v_add_lshl_u32 v23, v23, v24, 23
	v_lshlrev_b32_e32 v24, 23, v24
	v_alignbit_b32 v21, v22, v21, v25
	v_lshlrev_b32_e32 v22, 31, v30
	v_lshrrev_b32_e32 v21, 9, v21
	v_or_b32_e32 v25, 0x33000000, v22
	v_or_b32_e32 v22, 0.5, v22
	v_sub_nc_u32_e32 v23, v25, v23
	v_sub_nc_u32_e32 v22, v22, v24
	v_or_b32_e32 v21, v23, v21
	v_lshrrev_b32_e32 v23, 9, v26
	v_or_b32_e32 v22, v23, v22
	v_mul_f32_e32 v23, 0x3fc90fda, v22
	v_fma_f32 v24, 0x3fc90fda, v22, -v23
	v_fmac_f32_e32 v24, 0x33a22168, v22
	v_fmac_f32_e32 v24, 0x3fc90fda, v21
	v_cndmask_b32_e64 v21, 0, 0xffffffc0, vcc_lo
	v_add_f32_e32 v39, v23, v24
	v_add_nc_u32_e32 v7, v21, v7
	v_mad_u64_u32 v[22:23], null, 0xfe5163ab, v31, 0
	v_cmp_lt_u32_e64 s0, 31, v7
	v_cndmask_b32_e64 v21, 0, 0xffffffe0, s0
	v_add_nc_u32_e32 v7, v21, v7
	v_cmp_lt_u32_e64 s1, 31, v7
	v_cndmask_b32_e64 v21, 0, 0xffffffe0, s1
	v_add_nc_u32_e32 v21, v21, v7
	v_mov_b32_e32 v7, v23
	v_cmp_eq_u32_e64 s2, 0, v21
	v_mad_u64_u32 v[23:24], null, 0x3c439041, v31, v[7:8]
	v_sub_nc_u32_e32 v21, 32, v21
	v_mov_b32_e32 v7, v24
	v_mad_u64_u32 v[24:25], null, 0xdb629599, v31, v[7:8]
	v_mov_b32_e32 v7, v25
	v_cndmask_b32_e32 v22, v24, v22, vcc_lo
	v_mad_u64_u32 v[25:26], null, 0xf534ddc0, v31, v[7:8]
	v_mov_b32_e32 v7, v26
	v_cndmask_b32_e32 v23, v25, v23, vcc_lo
	v_mad_u64_u32 v[28:29], null, 0xfc2757d1, v31, v[7:8]
	v_cndmask_b32_e64 v22, v23, v22, s0
	v_mov_b32_e32 v7, v29
	v_mad_u64_u32 v[29:30], null, 0x4e441529, v31, v[7:8]
	v_mov_b32_e32 v7, v30
	v_cndmask_b32_e32 v26, v29, v25, vcc_lo
	v_mad_u64_u32 v[30:31], null, 0xa2f9836e, v31, v[7:8]
	v_cndmask_b32_e32 v7, v30, v28, vcc_lo
	v_cndmask_b32_e32 v29, v31, v29, vcc_lo
	;; [unrolled: 1-line block ×3, first 2 shown]
	v_cndmask_b32_e64 v30, v7, v26, s0
	v_cndmask_b32_e64 v7, v29, v7, s0
	;; [unrolled: 1-line block ×8, first 2 shown]
	v_alignbit_b32 v30, v7, v29, v21
	v_alignbit_b32 v28, v29, v26, v21
	;; [unrolled: 1-line block ×3, first 2 shown]
	v_cndmask_b32_e64 v7, v30, v7, s2
	v_cndmask_b32_e64 v28, v28, v29, s2
	;; [unrolled: 1-line block ×3, first 2 shown]
	v_bfe_u32 v31, v7, 29, 1
	v_alignbit_b32 v29, v7, v28, 30
	v_alignbit_b32 v23, v28, v21, 30
	v_alignbit_b32 v21, v21, v22, 30
	v_lshrrev_b32_e32 v30, 29, v7
	v_sub_nc_u32_e32 v32, 0, v31
	v_lshrrev_b32_e32 v7, 30, v7
	v_xor_b32_e32 v29, v29, v32
	v_xor_b32_e32 v23, v23, v32
	;; [unrolled: 1-line block ×3, first 2 shown]
	v_add_nc_u32_e32 v47, v31, v7
	v_add_nc_u32_e32 v45, v30, v7
	v_ffbh_u32_e32 v24, v29
	v_fma_f32 v7, v15, v15, -v20
	v_min_u32_e32 v24, 32, v24
	v_div_scale_f32 v20, null, v7, v7, 1.0
	v_sub_nc_u32_e32 v25, 31, v24
	v_alignbit_b32 v26, v29, v23, v25
	v_alignbit_b32 v21, v23, v21, v25
	;; [unrolled: 1-line block ×3, first 2 shown]
	v_ffbh_u32_e32 v23, v22
	v_min_u32_e32 v23, 32, v23
	v_not_b32_e32 v25, v23
	v_add_lshl_u32 v23, v23, v24, 23
	v_lshlrev_b32_e32 v24, 23, v24
	v_alignbit_b32 v21, v22, v21, v25
	v_lshlrev_b32_e32 v22, 31, v30
	v_lshrrev_b32_e32 v21, 9, v21
	v_or_b32_e32 v25, 0x33000000, v22
	v_or_b32_e32 v22, 0.5, v22
	v_sub_nc_u32_e32 v23, v25, v23
	v_sub_nc_u32_e32 v22, v22, v24
	v_or_b32_e32 v21, v23, v21
	v_lshrrev_b32_e32 v23, 9, v26
	v_or_b32_e32 v22, v23, v22
	v_mul_f32_e32 v23, 0x3fc90fda, v22
	v_fma_f32 v24, 0x3fc90fda, v22, -v23
	v_fmac_f32_e32 v24, 0x33a22168, v22
	v_fmac_f32_e32 v24, 0x3fc90fda, v21
	v_mul_f32_e64 v21, 0x3f22f983, |v3|
	v_add_f32_e32 v46, v23, v24
	v_rndne_f32_e32 v21, v21
	v_fma_f32 v48, 0xbfc90fda, v21, |v3|
	v_cvt_i32_f32_e32 v44, v21
	v_fmac_f32_e32 v48, 0xb3a22168, v21
	v_fmac_f32_e32 v48, 0xa7c234c4, v21
	v_rcp_f32_e32 v21, v20
	v_fma_f32 v22, -v20, v21, 1.0
	v_fmac_f32_e32 v21, v22, v21
	v_div_scale_f32 v22, vcc_lo, 1.0, v7, 1.0
	v_mul_f32_e32 v23, v22, v21
	v_fma_f32 v24, -v20, v23, v22
	v_fmac_f32_e32 v23, v24, v21
	v_fma_f32 v20, -v20, v23, v22
	v_mul_f32_e32 v22, v16, v16
	v_div_fmas_f32 v20, v20, v21, v23
	v_div_fixup_f32 v7, v20, v7, 1.0
	v_mul_f32_e64 v20, v15, |v7|
	v_mul_f32_e64 v21, v3, |v7|
	v_fma_f32 v7, v16, v16, 4.0
	v_div_scale_f32 v23, null, v7, v7, 4.0
	v_rcp_f32_e32 v24, v23
	v_fma_f32 v25, -v23, v24, 1.0
	v_fmac_f32_e32 v24, v25, v24
	v_div_scale_f32 v25, vcc_lo, 4.0, v7, 4.0
	v_mul_f32_e32 v26, v25, v24
	v_fma_f32 v28, -v23, v26, v25
	v_fmac_f32_e32 v26, v28, v24
	v_fma_f32 v23, -v23, v26, v25
	v_div_fmas_f32 v23, v23, v24, v26
	v_div_fixup_f32 v7, v23, v7, 4.0
	v_mul_f32_e32 v23, v15, v7
	v_mul_f32_e32 v24, v3, v7
	v_add_f32_e32 v7, 1.0, v16
	v_div_scale_f32 v25, null, v7, v7, 2.0
	v_rcp_f32_e32 v26, v25
	v_fma_f32 v28, -v25, v26, 1.0
	v_fmac_f32_e32 v26, v28, v26
	v_div_scale_f32 v28, vcc_lo, 2.0, v7, 2.0
	v_mul_f32_e32 v29, v28, v26
	v_fma_f32 v30, -v25, v29, v28
	v_fmac_f32_e32 v29, v30, v26
	v_fma_f32 v25, -v25, v29, v28
	v_div_fmas_f32 v25, v25, v26, v29
	v_div_fixup_f32 v7, v25, v7, 2.0
	v_mul_f32_e32 v25, v15, v7
	v_mul_f32_e32 v26, v3, v7
	v_lshrrev_b32_e32 v7, 23, v49
	v_add_nc_u32_e32 v7, 0xffffff88, v7
	v_cmp_lt_u32_e32 vcc_lo, 63, v7
	v_cndmask_b32_e64 v28, 0, 0xffffffc0, vcc_lo
	v_add_nc_u32_e32 v7, v28, v7
	v_cmp_lt_u32_e64 s0, 31, v7
	v_cndmask_b32_e64 v28, 0, 0xffffffe0, s0
	v_add_nc_u32_e32 v7, v28, v7
	v_cmp_lt_u32_e64 s1, 31, v7
	v_cndmask_b32_e64 v28, 0, 0xffffffe0, s1
	v_add_nc_u32_e32 v50, v28, v7
	v_mad_u64_u32 v[28:29], null, 0xfe5163ab, v36, 0
	v_cmp_eq_u32_e64 s2, 0, v50
	v_mov_b32_e32 v7, v29
	v_mad_u64_u32 v[29:30], null, 0x3c439041, v36, v[7:8]
	v_mov_b32_e32 v7, v30
	v_mad_u64_u32 v[30:31], null, 0xdb629599, v36, v[7:8]
	v_mov_b32_e32 v7, v31
	v_cndmask_b32_e32 v28, v30, v28, vcc_lo
	v_mad_u64_u32 v[31:32], null, 0xf534ddc0, v36, v[7:8]
	v_mov_b32_e32 v7, v32
	v_cndmask_b32_e32 v29, v31, v29, vcc_lo
	v_mad_u64_u32 v[32:33], null, 0xfc2757d1, v36, v[7:8]
	v_cndmask_b32_e64 v28, v29, v28, s0
	v_mov_b32_e32 v7, v33
	v_mad_u64_u32 v[33:34], null, 0x4e441529, v36, v[7:8]
	v_mov_b32_e32 v7, v34
	v_cndmask_b32_e32 v51, v33, v31, vcc_lo
	v_mad_u64_u32 v[36:37], null, 0xa2f9836e, v36, v[7:8]
	v_cndmask_b32_e32 v7, v36, v32, vcc_lo
	v_cndmask_b32_e32 v33, v37, v33, vcc_lo
	;; [unrolled: 1-line block ×3, first 2 shown]
	v_sub_nc_u32_e32 v36, 32, v50
	v_cndmask_b32_e64 v34, v7, v51, s0
	v_cndmask_b32_e64 v7, v33, v7, s0
	;; [unrolled: 1-line block ×8, first 2 shown]
	v_alignbit_b32 v37, v7, v34, v36
	v_alignbit_b32 v33, v34, v32, v36
	;; [unrolled: 1-line block ×3, first 2 shown]
	v_cndmask_b32_e64 v7, v37, v7, s2
	v_cndmask_b32_e64 v33, v33, v34, s2
	;; [unrolled: 1-line block ×3, first 2 shown]
	v_bfe_u32 v51, v7, 29, 1
	v_alignbit_b32 v34, v7, v33, 30
	v_lshrrev_b32_e32 v37, 29, v7
	v_alignbit_b32 v30, v33, v29, 30
	v_alignbit_b32 v28, v29, v28, 30
	v_sub_nc_u32_e32 v50, 0, v51
	v_lshrrev_b32_e32 v7, 30, v7
	v_xor_b32_e32 v34, v34, v50
	v_xor_b32_e32 v30, v30, v50
	;; [unrolled: 1-line block ×3, first 2 shown]
	v_add_nc_u32_e32 v97, v51, v7
	v_mul_f32_e64 v7, 0x3f22f983, |v27|
	v_ffbh_u32_e32 v31, v34
	v_rndne_f32_e32 v7, v7
	v_min_u32_e32 v31, 32, v31
	v_fma_f32 v98, 0xbfc90fda, v7, |v27|
	v_sub_nc_u32_e32 v32, 31, v31
	v_cvt_i32_f32_e32 v99, v7
	v_fmac_f32_e32 v98, 0xb3a22168, v7
	v_alignbit_b32 v33, v34, v30, v32
	v_alignbit_b32 v28, v30, v28, v32
	v_and_or_b32 v34, v101, s33, 0x800000
	v_fmac_f32_e32 v98, 0xa7c234c4, v7
	v_lshrrev_b32_e32 v7, 23, v101
	v_alignbit_b32 v29, v33, v28, 9
	v_add_nc_u32_e32 v7, 0xffffff88, v7
	v_ffbh_u32_e32 v30, v29
	v_cmp_lt_u32_e32 vcc_lo, 63, v7
	v_min_u32_e32 v30, 32, v30
	v_cndmask_b32_e64 v27, 0, 0xffffffc0, vcc_lo
	v_not_b32_e32 v32, v30
	v_add_lshl_u32 v30, v30, v31, 23
	v_lshlrev_b32_e32 v31, 23, v31
	v_add_nc_u32_e32 v7, v27, v7
	v_alignbit_b32 v28, v29, v28, v32
	v_lshlrev_b32_e32 v29, 31, v37
	v_cmp_lt_u32_e64 s0, 31, v7
	v_lshrrev_b32_e32 v28, 9, v28
	v_or_b32_e32 v32, 0x33000000, v29
	v_or_b32_e32 v29, 0.5, v29
	v_cndmask_b32_e64 v27, 0, 0xffffffe0, s0
	v_sub_nc_u32_e32 v30, v32, v30
	v_sub_nc_u32_e32 v29, v29, v31
	v_add_nc_u32_e32 v7, v27, v7
	v_or_b32_e32 v28, v30, v28
	v_lshrrev_b32_e32 v30, 9, v33
	v_cmp_lt_u32_e64 s1, 31, v7
	v_or_b32_e32 v29, v30, v29
	v_cndmask_b32_e64 v27, 0, 0xffffffe0, s1
	v_mul_f32_e32 v30, 0x3fc90fda, v29
	v_add_nc_u32_e32 v36, v27, v7
	v_fma_f32 v31, 0x3fc90fda, v29, -v30
	v_cmp_eq_u32_e64 s2, 0, v36
	v_fmac_f32_e32 v31, 0x33a22168, v29
	v_fmac_f32_e32 v31, 0x3fc90fda, v28
	v_mad_u64_u32 v[27:28], null, 0xfe5163ab, v34, 0
	v_add_f32_e32 v50, v30, v31
	v_mov_b32_e32 v7, v28
	v_mad_u64_u32 v[28:29], null, 0x3c439041, v34, v[7:8]
	v_mov_b32_e32 v7, v29
	v_mad_u64_u32 v[29:30], null, 0xdb629599, v34, v[7:8]
	v_mov_b32_e32 v7, v30
	v_cndmask_b32_e32 v27, v29, v27, vcc_lo
	v_mad_u64_u32 v[30:31], null, 0xf534ddc0, v34, v[7:8]
	v_mov_b32_e32 v7, v31
	v_cndmask_b32_e32 v28, v30, v28, vcc_lo
	v_mad_u64_u32 v[31:32], null, 0xfc2757d1, v34, v[7:8]
	v_cndmask_b32_e64 v27, v28, v27, s0
	v_mov_b32_e32 v7, v32
	v_mad_u64_u32 v[32:33], null, 0x4e441529, v34, v[7:8]
	v_mov_b32_e32 v7, v33
	v_cndmask_b32_e32 v37, v32, v30, vcc_lo
	v_mad_u64_u32 v[33:34], null, 0xa2f9836e, v34, v[7:8]
	v_cndmask_b32_e32 v7, v33, v31, vcc_lo
	v_cndmask_b32_e32 v32, v34, v32, vcc_lo
	;; [unrolled: 1-line block ×3, first 2 shown]
	v_sub_nc_u32_e32 v34, 32, v36
	v_cndmask_b32_e64 v33, v7, v37, s0
	v_cndmask_b32_e64 v7, v32, v7, s0
	;; [unrolled: 1-line block ×4, first 2 shown]
	s_mov_b32 s0, 0x3ab42872
	v_cndmask_b32_e64 v7, v7, v33, s1
	v_cndmask_b32_e64 v33, v33, v32, s1
	;; [unrolled: 1-line block ×4, first 2 shown]
	v_alignbit_b32 v36, v7, v33, v34
	v_alignbit_b32 v32, v33, v31, v34
	;; [unrolled: 1-line block ×3, first 2 shown]
	v_cndmask_b32_e64 v7, v36, v7, s2
	v_cndmask_b32_e64 v32, v32, v33, s2
	;; [unrolled: 1-line block ×3, first 2 shown]
	v_bfe_u32 v37, v7, 29, 1
	v_alignbit_b32 v33, v7, v32, 30
	v_alignbit_b32 v29, v32, v28, 30
	;; [unrolled: 1-line block ×3, first 2 shown]
	v_lshrrev_b32_e32 v36, 29, v7
	v_sub_nc_u32_e32 v51, 0, v37
	v_lshrrev_b32_e32 v7, 30, v7
	v_xor_b32_e32 v33, v33, v51
	v_xor_b32_e32 v29, v29, v51
	;; [unrolled: 1-line block ×3, first 2 shown]
	v_add_nc_u32_e32 v104, v37, v7
	v_mul_f32_e64 v7, 0x3f22f983, |v100|
	v_ffbh_u32_e32 v30, v33
	v_rndne_f32_e32 v7, v7
	v_min_u32_e32 v30, 32, v30
	v_fma_f32 v105, 0xbfc90fda, v7, |v100|
	v_sub_nc_u32_e32 v31, 31, v30
	v_cvt_i32_f32_e32 v106, v7
	v_fmac_f32_e32 v105, 0xb3a22168, v7
	v_alignbit_b32 v32, v33, v29, v31
	v_alignbit_b32 v27, v29, v27, v31
	v_fmac_f32_e32 v105, 0xa7c234c4, v7
	v_add_f32_e64 v7, 0xbf317218, |v3|
	v_alignbit_b32 v28, v32, v27, 9
	v_ffbh_u32_e32 v29, v28
	v_min_u32_e32 v29, 32, v29
	v_not_b32_e32 v31, v29
	v_add_lshl_u32 v29, v29, v30, 23
	v_lshlrev_b32_e32 v30, 23, v30
	v_alignbit_b32 v27, v28, v27, v31
	v_lshlrev_b32_e32 v28, 31, v36
	v_lshrrev_b32_e32 v27, 9, v27
	v_or_b32_e32 v31, 0x33000000, v28
	v_or_b32_e32 v28, 0.5, v28
	v_sub_nc_u32_e32 v29, v31, v29
	v_sub_nc_u32_e32 v28, v28, v30
	v_or_b32_e32 v27, v29, v27
	v_lshrrev_b32_e32 v29, 9, v32
	v_or_b32_e32 v28, v29, v28
	v_mul_f32_e32 v29, 0x3fc90fda, v28
	v_fma_f32 v30, 0x3fc90fda, v28, -v29
	v_fmac_f32_e32 v30, 0x33a22168, v28
	v_fmac_f32_e32 v30, 0x3fc90fda, v27
	v_sub_f32_e64 v27, v7, |v3|
	v_add_f32_e32 v103, v29, v30
	v_sub_f32_e32 v28, v27, v7
	v_add_f32_e32 v27, 0x3f317218, v27
	v_add_f32_e64 v28, |v3|, v28
	v_sub_f32_e32 v27, v28, v27
	v_add_f32_e32 v27, 0x3102e308, v27
	v_add_f32_e32 v28, v7, v27
	v_sub_f32_e32 v7, v7, v28
	v_add_f32_e32 v7, v27, v7
	v_mul_f32_e32 v27, 0x3fb8aa3b, v28
	v_rndne_f32_e32 v27, v27
	v_fmamk_f32 v28, v27, 0xbf317200, v28
	v_add_f32_e32 v29, v7, v28
	v_sub_f32_e32 v28, v28, v29
	v_add_f32_e32 v7, v7, v28
	v_mul_f32_e32 v28, 0x35bfbc00, v27
	v_sub_f32_e32 v30, v29, v28
	v_sub_f32_e32 v29, v29, v30
	;; [unrolled: 1-line block ×3, first 2 shown]
	v_add_f32_e32 v7, v7, v28
	v_add_f32_e32 v28, v30, v7
	v_sub_f32_e32 v29, v30, v28
	v_add_f32_e32 v7, v7, v29
	v_mul_f32_e32 v29, 0x2ea39ef3, v27
	v_cvt_i32_f32_e32 v27, v27
	v_sub_f32_e32 v30, v28, v29
	v_sub_f32_e32 v28, v28, v30
	;; [unrolled: 1-line block ×3, first 2 shown]
	v_add_f32_e32 v7, v7, v28
	v_add_f32_e32 v28, v30, v7
	v_sub_f32_e32 v30, v30, v28
	v_mul_f32_e32 v31, v28, v28
	v_fmaak_f32 v29, s0, v28, 0x3c091de6
	v_cmp_lt_f32_e64 s0, 0x42b2d4fc, |v3|
	v_add_f32_e32 v7, v7, v30
	v_fma_f32 v32, v28, v28, -v31
	v_fmaak_f32 v29, v28, v29, 0x3d2aadcc
	v_add_f32_e32 v30, v7, v7
	v_fmaak_f32 v29, v28, v29, 0x3e2aaa47
	v_fmac_f32_e32 v32, v28, v30
	v_fmaak_f32 v29, v28, v29, 0x3efffffc
	v_add_f32_e32 v30, v31, v32
	v_sub_f32_e32 v31, v30, v31
	v_sub_f32_e32 v31, v32, v31
	v_mul_f32_e32 v32, v29, v30
	v_fma_f32 v30, v30, v29, -v32
	v_fmac_f32_e32 v30, v31, v29
	v_add_f32_e32 v29, v32, v30
	v_sub_f32_e32 v31, v29, v32
	v_sub_f32_e32 v30, v30, v31
	v_add_f32_e32 v31, v28, v29
	v_add_f32_e32 v7, v7, v30
	v_sub_f32_e32 v28, v31, v28
	v_sub_f32_e32 v28, v29, v28
	v_add_f32_e32 v7, v7, v28
	v_add_f32_e32 v28, v31, v7
	v_sub_f32_e32 v29, v28, v31
	v_sub_f32_e32 v7, v7, v29
	v_add_f32_e32 v29, 1.0, v28
	v_add_f32_e32 v30, -1.0, v29
	v_sub_f32_e32 v28, v28, v30
	v_add_f32_e32 v7, v7, v28
	v_add_f32_e32 v28, v29, v7
	v_sub_f32_e32 v29, v28, v29
	v_ldexp_f32 v28, v28, v27
	v_sub_f32_e32 v7, v7, v29
	v_ldexp_f32 v7, v7, v27
	v_rcp_f32_e32 v27, v28
	v_mul_f32_e32 v29, v28, v27
	v_fma_f32 v30, v27, v28, -v29
	v_fmac_f32_e32 v30, v27, v7
	v_add_f32_e32 v31, v29, v30
	v_sub_f32_e32 v32, 1.0, v31
	v_sub_f32_e32 v29, v31, v29
	v_sub_f32_e32 v33, 1.0, v32
	v_sub_f32_e32 v29, v29, v30
	v_sub_f32_e32 v33, v33, v31
	v_add_f32_e32 v29, v29, v33
	v_add_f32_e32 v30, v32, v29
	v_mul_f32_e32 v31, v27, v30
	v_sub_f32_e32 v32, v32, v30
	v_mul_f32_e32 v33, v28, v31
	v_add_f32_e32 v29, v29, v32
	v_fma_f32 v34, v31, v28, -v33
	v_fmac_f32_e32 v34, v31, v7
	v_add_f32_e32 v32, v33, v34
	v_sub_f32_e32 v36, v30, v32
	v_sub_f32_e32 v33, v32, v33
	;; [unrolled: 1-line block ×4, first 2 shown]
	v_add_f32_e32 v29, v29, v30
	v_sub_f32_e32 v30, v33, v34
	v_and_or_b32 v34, v110, s33, 0x800000
	v_add_f32_e32 v29, v30, v29
	v_add_f32_e32 v30, v27, v31
	;; [unrolled: 1-line block ×3, first 2 shown]
	v_mul_f32_e32 v29, v27, v29
	v_sub_f32_e32 v27, v30, v27
	v_sub_f32_e32 v27, v31, v27
	v_add_f32_e32 v27, v27, v29
	v_add_f32_e32 v29, v30, v27
	v_sub_f32_e32 v30, v29, v30
	v_ldexp_f32 v29, v29, -2
	v_sub_f32_e32 v27, v27, v30
	v_add_f32_e32 v30, v28, v29
	v_ldexp_f32 v27, v27, -2
	v_sub_f32_e32 v31, v30, v28
	v_add_f32_e32 v32, v7, v27
	v_sub_f32_e32 v31, v29, v31
	v_add_f32_e32 v31, v32, v31
	v_add_f32_e32 v30, v30, v31
	v_cndmask_b32_e64 v107, v30, 0x7f800000, s0
	v_sub_f32_e32 v30, v28, v29
	v_sub_f32_e32 v28, v28, v30
	;; [unrolled: 1-line block ×3, first 2 shown]
	v_add_f32_e32 v7, v7, v28
	v_sub_f32_e32 v7, v7, v27
	v_add_f32_e32 v7, v30, v7
	v_cndmask_b32_e64 v7, v7, 0x7f800000, s0
	v_cmp_gt_f32_e64 s0, 0x39800000, |v3|
	v_cndmask_b32_e64 v7, v7, |v3|, s0
	v_bfi_b32 v108, 0x7fffffff, v7, v3
	v_add_f32_e32 v7, -1.0, v15
	v_mul_f32_e32 v27, 0x3fb8aa3b, v7
	v_cmp_ngt_f32_e32 vcc_lo, 0xc2ce8ed0, v7
	v_fma_f32 v28, 0x3fb8aa3b, v7, -v27
	v_rndne_f32_e32 v29, v27
	v_fmac_f32_e32 v28, 0x32a5705f, v7
	v_sub_f32_e32 v27, v27, v29
	v_add_f32_e32 v27, v27, v28
	v_cvt_i32_f32_e32 v28, v29
	v_exp_f32_e32 v27, v27
	v_ldexp_f32 v27, v27, v28
	v_cndmask_b32_e32 v27, 0, v27, vcc_lo
	v_cmp_nlt_f32_e32 vcc_lo, 0x42b17218, v7
	v_lshrrev_b32_e32 v7, 23, v110
	v_cndmask_b32_e32 v102, 0x7f800000, v27, vcc_lo
	v_add_nc_u32_e32 v7, 0xffffff88, v7
	v_cmp_lt_u32_e32 vcc_lo, 63, v7
	v_cndmask_b32_e64 v27, 0, 0xffffffc0, vcc_lo
	v_add_nc_u32_e32 v7, v27, v7
	v_cmp_lt_u32_e64 s0, 31, v7
	v_cndmask_b32_e64 v27, 0, 0xffffffe0, s0
	v_add_nc_u32_e32 v7, v27, v7
	v_cmp_lt_u32_e64 s1, 31, v7
	v_cndmask_b32_e64 v27, 0, 0xffffffe0, s1
	v_add_nc_u32_e32 v36, v27, v7
	v_mad_u64_u32 v[27:28], null, 0xfe5163ab, v34, 0
	v_cmp_eq_u32_e64 s2, 0, v36
	v_mov_b32_e32 v7, v28
	v_mad_u64_u32 v[28:29], null, 0x3c439041, v34, v[7:8]
	v_mov_b32_e32 v7, v29
	v_mad_u64_u32 v[29:30], null, 0xdb629599, v34, v[7:8]
	v_mov_b32_e32 v7, v30
	v_cndmask_b32_e32 v27, v29, v27, vcc_lo
	v_mad_u64_u32 v[30:31], null, 0xf534ddc0, v34, v[7:8]
	v_mov_b32_e32 v7, v31
	v_cndmask_b32_e32 v28, v30, v28, vcc_lo
	v_mad_u64_u32 v[31:32], null, 0xfc2757d1, v34, v[7:8]
	v_cndmask_b32_e64 v27, v28, v27, s0
	v_mov_b32_e32 v7, v32
	v_mad_u64_u32 v[32:33], null, 0x4e441529, v34, v[7:8]
	v_mov_b32_e32 v7, v33
	v_cndmask_b32_e32 v37, v32, v30, vcc_lo
	v_mad_u64_u32 v[33:34], null, 0xa2f9836e, v34, v[7:8]
	v_cndmask_b32_e32 v7, v33, v31, vcc_lo
	v_cndmask_b32_e32 v32, v34, v32, vcc_lo
	;; [unrolled: 1-line block ×3, first 2 shown]
	v_sub_nc_u32_e32 v34, 32, v36
	v_cndmask_b32_e64 v33, v7, v37, s0
	v_cndmask_b32_e64 v7, v32, v7, s0
	;; [unrolled: 1-line block ×8, first 2 shown]
	v_alignbit_b32 v36, v7, v33, v34
	v_alignbit_b32 v32, v33, v31, v34
	;; [unrolled: 1-line block ×3, first 2 shown]
	v_and_or_b32 v34, v78, s33, 0x800000
	v_cndmask_b32_e64 v7, v36, v7, s2
	v_cndmask_b32_e64 v32, v32, v33, s2
	v_cndmask_b32_e64 v28, v28, v31, s2
	v_bfe_u32 v37, v7, 29, 1
	v_alignbit_b32 v33, v7, v32, 30
	v_alignbit_b32 v29, v32, v28, 30
	;; [unrolled: 1-line block ×3, first 2 shown]
	v_lshrrev_b32_e32 v36, 29, v7
	v_sub_nc_u32_e32 v51, 0, v37
	v_lshrrev_b32_e32 v7, 30, v7
	v_xor_b32_e32 v33, v33, v51
	v_xor_b32_e32 v29, v29, v51
	;; [unrolled: 1-line block ×3, first 2 shown]
	v_add_nc_u32_e32 v112, v37, v7
	v_mul_f32_e64 v7, 0x3f22f983, |v109|
	v_ffbh_u32_e32 v30, v33
	v_mul_f32_e32 v51, 0x40400000, v15
	v_rndne_f32_e32 v7, v7
	v_min_u32_e32 v30, 32, v30
	v_and_b32_e32 v52, 0x7fffffff, v51
	v_cmp_gt_f32_e64 s8, 0x48000000, |v51|
	v_cmp_class_f32_e64 s13, v51, 0x1f8
	v_fma_f32 v113, 0xbfc90fda, v7, |v109|
	v_sub_nc_u32_e32 v31, 31, v30
	v_cvt_i32_f32_e32 v114, v7
	v_fmac_f32_e32 v113, 0xb3a22168, v7
	v_alignbit_b32 v32, v33, v29, v31
	v_alignbit_b32 v27, v29, v27, v31
	v_fmac_f32_e32 v113, 0xa7c234c4, v7
	v_lshrrev_b32_e32 v7, 23, v78
	v_alignbit_b32 v28, v32, v27, 9
	v_add_nc_u32_e32 v7, 0xffffff88, v7
	v_ffbh_u32_e32 v29, v28
	v_cmp_lt_u32_e32 vcc_lo, 63, v7
	v_min_u32_e32 v29, 32, v29
	v_not_b32_e32 v31, v29
	v_add_lshl_u32 v29, v29, v30, 23
	v_lshlrev_b32_e32 v30, 23, v30
	v_alignbit_b32 v27, v28, v27, v31
	v_lshlrev_b32_e32 v28, 31, v36
	v_lshrrev_b32_e32 v27, 9, v27
	v_or_b32_e32 v31, 0x33000000, v28
	v_or_b32_e32 v28, 0.5, v28
	v_sub_nc_u32_e32 v29, v31, v29
	v_sub_nc_u32_e32 v28, v28, v30
	v_or_b32_e32 v27, v29, v27
	v_lshrrev_b32_e32 v29, 9, v32
	v_or_b32_e32 v28, v29, v28
	v_mul_f32_e32 v29, 0x3fc90fda, v28
	v_fma_f32 v30, 0x3fc90fda, v28, -v29
	v_fmac_f32_e32 v30, 0x33a22168, v28
	v_fmac_f32_e32 v30, 0x3fc90fda, v27
	v_cndmask_b32_e64 v27, 0, 0xffffffc0, vcc_lo
	v_add_f32_e32 v111, v29, v30
	v_add_nc_u32_e32 v7, v27, v7
	v_cmp_lt_u32_e64 s0, 31, v7
	v_cndmask_b32_e64 v27, 0, 0xffffffe0, s0
	v_add_nc_u32_e32 v7, v27, v7
	v_cmp_lt_u32_e64 s1, 31, v7
	v_cndmask_b32_e64 v27, 0, 0xffffffe0, s1
	v_add_nc_u32_e32 v36, v27, v7
	v_mad_u64_u32 v[27:28], null, 0xfe5163ab, v34, 0
	v_cmp_eq_u32_e64 s2, 0, v36
	v_mov_b32_e32 v7, v28
	v_mad_u64_u32 v[28:29], null, 0x3c439041, v34, v[7:8]
	v_mov_b32_e32 v7, v29
	v_mad_u64_u32 v[29:30], null, 0xdb629599, v34, v[7:8]
	v_mov_b32_e32 v7, v30
	v_cndmask_b32_e32 v27, v29, v27, vcc_lo
	v_mad_u64_u32 v[30:31], null, 0xf534ddc0, v34, v[7:8]
	v_mov_b32_e32 v7, v31
	v_cndmask_b32_e32 v28, v30, v28, vcc_lo
	v_mad_u64_u32 v[31:32], null, 0xfc2757d1, v34, v[7:8]
	v_cndmask_b32_e64 v27, v28, v27, s0
	v_mov_b32_e32 v7, v32
	v_mad_u64_u32 v[32:33], null, 0x4e441529, v34, v[7:8]
	v_mov_b32_e32 v7, v33
	v_cndmask_b32_e32 v37, v32, v30, vcc_lo
	v_mad_u64_u32 v[33:34], null, 0xa2f9836e, v34, v[7:8]
	v_cndmask_b32_e32 v7, v33, v31, vcc_lo
	v_cndmask_b32_e32 v32, v34, v32, vcc_lo
	;; [unrolled: 1-line block ×3, first 2 shown]
	v_sub_nc_u32_e32 v34, 32, v36
	v_cndmask_b32_e64 v33, v7, v37, s0
	v_cndmask_b32_e64 v7, v32, v7, s0
	v_cndmask_b32_e64 v32, v37, v31, s0
	v_cndmask_b32_e64 v30, v31, v28, s0
	v_cndmask_b32_e64 v7, v7, v33, s1
	v_cndmask_b32_e64 v33, v33, v32, s1
	v_cndmask_b32_e64 v31, v32, v30, s1
	v_cndmask_b32_e64 v27, v30, v27, s1
	v_alignbit_b32 v36, v7, v33, v34
	v_alignbit_b32 v32, v33, v31, v34
	;; [unrolled: 1-line block ×3, first 2 shown]
	v_and_or_b32 v34, v52, s33, 0x800000
	v_cndmask_b32_e64 v7, v36, v7, s2
	v_cndmask_b32_e64 v32, v32, v33, s2
	;; [unrolled: 1-line block ×3, first 2 shown]
	v_bfe_i32 v37, v7, 29, 1
	v_alignbit_b32 v33, v7, v32, 30
	v_alignbit_b32 v29, v32, v28, 30
	;; [unrolled: 1-line block ×3, first 2 shown]
	v_lshrrev_b32_e32 v36, 29, v7
	v_lshrrev_b32_e32 v7, 30, v7
	v_xor_b32_e32 v33, v33, v37
	v_xor_b32_e32 v29, v29, v37
	;; [unrolled: 1-line block ×3, first 2 shown]
	v_add_nc_u32_e32 v94, v36, v7
	v_ffbh_u32_e32 v30, v33
	v_mul_f32_e64 v7, 0x3f22f983, |v77|
	v_min_u32_e32 v30, 32, v30
	v_rndne_f32_e32 v7, v7
	v_sub_nc_u32_e32 v31, 31, v30
	v_fma_f32 v95, 0xbfc90fda, v7, |v77|
	v_cvt_i32_f32_e32 v96, v7
	v_alignbit_b32 v32, v33, v29, v31
	v_alignbit_b32 v27, v29, v27, v31
	v_fmac_f32_e32 v95, 0xb3a22168, v7
	v_alignbit_b32 v28, v32, v27, 9
	v_fmac_f32_e32 v95, 0xa7c234c4, v7
	v_lshrrev_b32_e32 v7, 23, v52
	v_ffbh_u32_e32 v29, v28
	v_add_nc_u32_e32 v7, 0xffffff88, v7
	v_min_u32_e32 v29, 32, v29
	v_cmp_lt_u32_e32 vcc_lo, 63, v7
	v_not_b32_e32 v31, v29
	v_add_lshl_u32 v29, v29, v30, 23
	v_lshlrev_b32_e32 v30, 23, v30
	v_alignbit_b32 v27, v28, v27, v31
	v_lshlrev_b32_e32 v28, 31, v36
	v_lshrrev_b32_e32 v27, 9, v27
	v_or_b32_e32 v31, 0x33000000, v28
	v_or_b32_e32 v28, 0.5, v28
	v_sub_nc_u32_e32 v29, v31, v29
	v_sub_nc_u32_e32 v28, v28, v30
	v_or_b32_e32 v27, v29, v27
	v_lshrrev_b32_e32 v29, 9, v32
	v_or_b32_e32 v28, v29, v28
	v_mul_f32_e32 v29, 0x3fc90fda, v28
	v_fma_f32 v30, 0x3fc90fda, v28, -v29
	v_fmac_f32_e32 v30, 0x33a22168, v28
	v_fmac_f32_e32 v30, 0x3fc90fda, v27
	v_cndmask_b32_e64 v27, 0, 0xffffffc0, vcc_lo
	v_add_f32_e32 v93, v29, v30
	v_add_nc_u32_e32 v7, v27, v7
	v_cmp_lt_u32_e64 s0, 31, v7
	v_cndmask_b32_e64 v27, 0, 0xffffffe0, s0
	v_add_nc_u32_e32 v7, v27, v7
	v_cmp_lt_u32_e64 s1, 31, v7
	v_cndmask_b32_e64 v27, 0, 0xffffffe0, s1
	v_add_nc_u32_e32 v36, v27, v7
	v_mad_u64_u32 v[27:28], null, 0xfe5163ab, v34, 0
	v_cmp_eq_u32_e64 s2, 0, v36
	v_mov_b32_e32 v7, v28
	v_mad_u64_u32 v[28:29], null, 0x3c439041, v34, v[7:8]
	v_mov_b32_e32 v7, v29
	v_mad_u64_u32 v[29:30], null, 0xdb629599, v34, v[7:8]
	v_mov_b32_e32 v7, v30
	v_cndmask_b32_e32 v27, v29, v27, vcc_lo
	v_mad_u64_u32 v[30:31], null, 0xf534ddc0, v34, v[7:8]
	v_mov_b32_e32 v7, v31
	v_cndmask_b32_e32 v28, v30, v28, vcc_lo
	v_mad_u64_u32 v[31:32], null, 0xfc2757d1, v34, v[7:8]
	v_cndmask_b32_e64 v27, v28, v27, s0
	v_mov_b32_e32 v7, v32
	v_mad_u64_u32 v[32:33], null, 0x4e441529, v34, v[7:8]
	v_mov_b32_e32 v7, v33
	v_cndmask_b32_e32 v37, v32, v30, vcc_lo
	v_mad_u64_u32 v[33:34], null, 0xa2f9836e, v34, v[7:8]
	v_cndmask_b32_e32 v7, v33, v31, vcc_lo
	v_cndmask_b32_e32 v32, v34, v32, vcc_lo
	;; [unrolled: 1-line block ×3, first 2 shown]
	v_sub_nc_u32_e32 v34, 32, v36
	v_cmp_le_f32_e32 vcc_lo, 0, v15
	v_cndmask_b32_e64 v33, v7, v37, s0
	v_cndmask_b32_e64 v7, v32, v7, s0
	;; [unrolled: 1-line block ×8, first 2 shown]
	v_alignbit_b32 v36, v7, v33, v34
	v_alignbit_b32 v32, v33, v31, v34
	;; [unrolled: 1-line block ×3, first 2 shown]
	v_cndmask_b32_e64 v7, v36, v7, s2
	v_cndmask_b32_e64 v32, v32, v33, s2
	;; [unrolled: 1-line block ×3, first 2 shown]
	v_bfe_i32 v37, v7, 29, 1
	v_alignbit_b32 v33, v7, v32, 30
	v_alignbit_b32 v29, v32, v28, 30
	;; [unrolled: 1-line block ×3, first 2 shown]
	v_lshrrev_b32_e32 v36, 29, v7
	v_lshrrev_b32_e32 v7, 30, v7
	v_xor_b32_e32 v33, v33, v37
	v_xor_b32_e32 v29, v29, v37
	v_xor_b32_e32 v27, v27, v37
	v_add_nc_u32_e32 v86, v36, v7
	v_ffbh_u32_e32 v30, v33
	v_mul_f32_e64 v7, 0x3f22f983, |v51|
	v_min_u32_e32 v30, 32, v30
	v_rndne_f32_e32 v7, v7
	v_sub_nc_u32_e32 v31, 31, v30
	v_fma_f32 v88, 0xbfc90fda, v7, |v51|
	v_cvt_i32_f32_e32 v90, v7
	v_alignbit_b32 v32, v33, v29, v31
	v_alignbit_b32 v27, v29, v27, v31
	v_fmac_f32_e32 v88, 0xb3a22168, v7
	v_alignbit_b32 v28, v32, v27, 9
	v_fmac_f32_e32 v88, 0xa7c234c4, v7
	v_cndmask_b32_e64 v7, 0, 2, vcc_lo
	v_cmp_le_f32_e32 vcc_lo, 0, v3
	v_ffbh_u32_e32 v29, v28
	v_min_u32_e32 v29, 32, v29
	v_not_b32_e32 v31, v29
	v_add_lshl_u32 v29, v29, v30, 23
	v_lshlrev_b32_e32 v30, 23, v30
	v_alignbit_b32 v27, v28, v27, v31
	v_lshlrev_b32_e32 v28, 31, v36
	v_lshrrev_b32_e32 v27, 9, v27
	v_or_b32_e32 v31, 0x33000000, v28
	v_or_b32_e32 v28, 0.5, v28
	v_sub_nc_u32_e32 v29, v31, v29
	v_sub_nc_u32_e32 v28, v28, v30
	v_or_b32_e32 v27, v29, v27
	v_lshrrev_b32_e32 v29, 9, v32
	v_or_b32_e32 v28, v29, v28
	v_mul_f32_e32 v29, 0x3fc90fda, v28
	v_fma_f32 v30, 0x3fc90fda, v28, -v29
	v_fmac_f32_e32 v30, 0x33a22168, v28
	v_add_f32_e32 v28, v15, v15
	v_fmac_f32_e32 v30, 0x3fc90fda, v27
	v_cndmask_b32_e64 v27, 0, 1, vcc_lo
	v_cmp_gt_f32_e32 vcc_lo, 0xf800000, v16
	v_add_f32_e32 v85, v29, v30
	v_or_b32_e32 v27, v7, v27
	v_mul_f32_e32 v7, 0x4f800000, v16
	v_mul_f32_e32 v29, 0.5, v3
	v_cndmask_b32_e32 v7, v16, v7, vcc_lo
	v_sqrt_f32_e32 v30, v7
	v_add_nc_u32_e32 v31, -1, v30
	v_fma_f32 v32, -v31, v30, v7
	v_cmp_ge_f32_e64 s0, 0, v32
	v_add_nc_u32_e32 v32, 1, v30
	v_cndmask_b32_e64 v31, v30, v31, s0
	v_fma_f32 v30, -v32, v30, v7
	v_cmp_lt_f32_e64 s0, 0, v30
	v_cndmask_b32_e64 v30, v31, v32, s0
	v_mul_f32_e32 v31, 0x37800000, v30
	v_cndmask_b32_e32 v30, v30, v31, vcc_lo
	v_cmp_class_f32_e64 vcc_lo, v7, 0x260
	v_mul_f32_e32 v31, 0.5, v17
	v_cndmask_b32_e32 v30, v30, v7, vcc_lo
	v_lshrrev_b32_e32 v7, 23, v80
	v_add_nc_u32_e32 v7, 0xffffff88, v7
	v_cmp_lt_u32_e32 vcc_lo, 63, v7
	v_cndmask_b32_e64 v32, 0, 0xffffffc0, vcc_lo
	v_add_nc_u32_e32 v7, v32, v7
	v_cmp_lt_u32_e64 s0, 31, v7
	v_cndmask_b32_e64 v32, 0, 0xffffffe0, s0
	v_add_nc_u32_e32 v7, v32, v7
	v_cmp_lt_u32_e64 s1, 31, v7
	v_cndmask_b32_e64 v32, 0, 0xffffffe0, s1
	v_add_nc_u32_e32 v58, v32, v7
	v_mad_u64_u32 v[32:33], null, 0xfe5163ab, v57, 0
	v_cmp_eq_u32_e64 s2, 0, v58
	v_mov_b32_e32 v7, v33
	v_mad_u64_u32 v[33:34], null, 0x3c439041, v57, v[7:8]
	v_mov_b32_e32 v7, v34
	v_mad_u64_u32 v[36:37], null, 0xdb629599, v57, v[7:8]
	v_mov_b32_e32 v7, v37
	v_cndmask_b32_e32 v32, v36, v32, vcc_lo
	v_mad_u64_u32 v[53:54], null, 0xf534ddc0, v57, v[7:8]
	v_mov_b32_e32 v7, v54
	v_cndmask_b32_e32 v33, v53, v33, vcc_lo
	v_mad_u64_u32 v[54:55], null, 0xfc2757d1, v57, v[7:8]
	v_cndmask_b32_e64 v32, v33, v32, s0
	v_mov_b32_e32 v7, v55
	v_mad_u64_u32 v[55:56], null, 0x4e441529, v57, v[7:8]
	v_mov_b32_e32 v7, v56
	v_cndmask_b32_e32 v34, v55, v53, vcc_lo
	v_mad_u64_u32 v[56:57], null, 0xa2f9836e, v57, v[7:8]
	v_cndmask_b32_e32 v7, v56, v54, vcc_lo
	v_cndmask_b32_e32 v55, v57, v55, vcc_lo
	;; [unrolled: 1-line block ×3, first 2 shown]
	v_cndmask_b32_e64 v37, v7, v34, s0
	v_cndmask_b32_e64 v7, v55, v7, s0
	;; [unrolled: 1-line block ×3, first 2 shown]
	v_sub_nc_u32_e32 v55, 32, v58
	v_cndmask_b32_e64 v53, v54, v33, s0
	v_cndmask_b32_e64 v7, v7, v37, s1
	v_cndmask_b32_e64 v37, v37, v34, s1
	v_cndmask_b32_e64 v34, v34, v53, s1
	v_cndmask_b32_e64 v32, v53, v32, s1
	v_alignbit_b32 v56, v7, v37, v55
	v_alignbit_b32 v54, v37, v34, v55
	;; [unrolled: 1-line block ×3, first 2 shown]
	v_cndmask_b32_e64 v7, v56, v7, s2
	v_cndmask_b32_e64 v37, v54, v37, s2
	;; [unrolled: 1-line block ×3, first 2 shown]
	v_bfe_u32 v57, v7, 29, 1
	v_lshrrev_b32_e32 v56, 29, v7
	v_alignbit_b32 v54, v7, v37, 30
	v_alignbit_b32 v34, v37, v33, 30
	;; [unrolled: 1-line block ×3, first 2 shown]
	v_sub_nc_u32_e32 v58, 0, v57
	v_lshrrev_b32_e32 v7, 30, v7
	v_xor_b32_e32 v54, v54, v58
	v_xor_b32_e32 v34, v34, v58
	;; [unrolled: 1-line block ×3, first 2 shown]
	v_add_nc_u32_e32 v89, v57, v7
	v_mul_f32_e64 v7, 0x3f22f983, |v79|
	v_ffbh_u32_e32 v36, v54
	v_rndne_f32_e32 v7, v7
	v_min_u32_e32 v36, 32, v36
	v_fma_f32 v91, 0xbfc90fda, v7, |v79|
	v_sub_nc_u32_e32 v37, 31, v36
	v_cvt_i32_f32_e32 v92, v7
	v_fmac_f32_e32 v91, 0xb3a22168, v7
	v_alignbit_b32 v53, v54, v34, v37
	v_alignbit_b32 v32, v34, v32, v37
	v_fmac_f32_e32 v91, 0xa7c234c4, v7
	v_alignbit_b32 v33, v53, v32, 9
	v_ffbh_u32_e32 v34, v33
	v_min_u32_e32 v34, 32, v34
	v_not_b32_e32 v37, v34
	v_add_lshl_u32 v34, v34, v36, 23
	v_lshlrev_b32_e32 v36, 23, v36
	v_alignbit_b32 v32, v33, v32, v37
	v_lshlrev_b32_e32 v33, 31, v56
	v_lshrrev_b32_e32 v32, 9, v32
	v_or_b32_e32 v37, 0x33000000, v33
	v_or_b32_e32 v33, 0.5, v33
	v_sub_nc_u32_e32 v34, v37, v34
	v_sub_nc_u32_e32 v33, v33, v36
	v_or_b32_e32 v32, v34, v32
	v_lshrrev_b32_e32 v34, 9, v53
	v_sub_f32_e32 v53, v17, v16
	v_or_b32_e32 v33, v34, v33
	v_and_b32_e32 v55, 0x7fffffff, v53
	v_cmp_gt_f32_e64 s10, 0x48000000, |v53|
	v_mul_f32_e32 v34, 0x3fc90fda, v33
	v_lshrrev_b32_e32 v7, 23, v55
	v_and_or_b32 v60, v55, s33, 0x800000
	v_fma_f32 v36, 0x3fc90fda, v33, -v34
	v_add_nc_u32_e32 v7, 0xffffff88, v7
	v_fmac_f32_e32 v36, 0x33a22168, v33
	v_cmp_lt_u32_e32 vcc_lo, 63, v7
	v_fmac_f32_e32 v36, 0x3fc90fda, v32
	v_cndmask_b32_e64 v32, 0, 0xffffffc0, vcc_lo
	v_add_f32_e32 v87, v34, v36
	v_add_nc_u32_e32 v7, v32, v7
	v_cmp_lt_u32_e64 s0, 31, v7
	v_cndmask_b32_e64 v32, 0, 0xffffffe0, s0
	v_add_nc_u32_e32 v7, v32, v7
	v_cmp_lt_u32_e64 s1, 31, v7
	v_cndmask_b32_e64 v32, 0, 0xffffffe0, s1
	v_add_nc_u32_e32 v54, v32, v7
	v_mad_u64_u32 v[32:33], null, 0xfe5163ab, v60, 0
	v_cmp_eq_u32_e64 s2, 0, v54
	v_sub_nc_u32_e32 v54, 32, v54
	v_mov_b32_e32 v7, v33
	v_mad_u64_u32 v[33:34], null, 0x3c439041, v60, v[7:8]
	v_mov_b32_e32 v7, v34
	v_mad_u64_u32 v[36:37], null, 0xdb629599, v60, v[7:8]
	v_mov_b32_e32 v7, v37
	v_cndmask_b32_e32 v32, v36, v32, vcc_lo
	v_mad_u64_u32 v[56:57], null, 0xf534ddc0, v60, v[7:8]
	v_mov_b32_e32 v7, v57
	v_cndmask_b32_e32 v33, v56, v33, vcc_lo
	v_mad_u64_u32 v[57:58], null, 0xfc2757d1, v60, v[7:8]
	v_cndmask_b32_e64 v32, v33, v32, s0
	v_mov_b32_e32 v7, v58
	v_mad_u64_u32 v[58:59], null, 0x4e441529, v60, v[7:8]
	v_mov_b32_e32 v7, v59
	v_cndmask_b32_e32 v34, v58, v56, vcc_lo
	v_mad_u64_u32 v[59:60], null, 0xa2f9836e, v60, v[7:8]
	v_cndmask_b32_e32 v7, v59, v57, vcc_lo
	v_cndmask_b32_e32 v58, v60, v58, vcc_lo
	;; [unrolled: 1-line block ×3, first 2 shown]
	v_cndmask_b32_e64 v37, v7, v34, s0
	v_cndmask_b32_e64 v7, v58, v7, s0
	;; [unrolled: 1-line block ×4, first 2 shown]
	v_cmp_class_f32_e64 s0, v53, 0x1f8
	v_cndmask_b32_e64 v7, v7, v37, s1
	v_cndmask_b32_e64 v37, v37, v34, s1
	;; [unrolled: 1-line block ×4, first 2 shown]
	v_alignbit_b32 v58, v7, v37, v54
	v_alignbit_b32 v57, v37, v34, v54
	;; [unrolled: 1-line block ×3, first 2 shown]
	v_cndmask_b32_e64 v7, v58, v7, s2
	v_cndmask_b32_e64 v37, v57, v37, s2
	;; [unrolled: 1-line block ×3, first 2 shown]
	v_bfe_u32 v59, v7, 29, 1
	v_alignbit_b32 v57, v7, v37, 30
	v_alignbit_b32 v34, v37, v33, 30
	;; [unrolled: 1-line block ×3, first 2 shown]
	v_lshrrev_b32_e32 v58, 29, v7
	v_sub_nc_u32_e32 v60, 0, v59
	v_lshrrev_b32_e32 v7, 30, v7
	v_xor_b32_e32 v57, v57, v60
	v_xor_b32_e32 v34, v34, v60
	;; [unrolled: 1-line block ×3, first 2 shown]
	v_add_nc_u32_e32 v82, v59, v7
	v_mul_f32_e64 v7, 0x3f22f983, |v53|
	v_ffbh_u32_e32 v36, v57
	v_rndne_f32_e32 v7, v7
	v_min_u32_e32 v36, 32, v36
	v_fma_f32 v83, 0xbfc90fda, v7, |v53|
	v_sub_nc_u32_e32 v37, 31, v36
	v_cvt_i32_f32_e32 v84, v7
	v_fmac_f32_e32 v83, 0xb3a22168, v7
	v_alignbit_b32 v54, v57, v34, v37
	v_alignbit_b32 v32, v34, v32, v37
	v_fmac_f32_e32 v83, 0xa7c234c4, v7
	v_alignbit_b32 v33, v54, v32, 9
	v_ffbh_u32_e32 v34, v33
	v_min_u32_e32 v34, 32, v34
	v_not_b32_e32 v37, v34
	v_add_lshl_u32 v34, v34, v36, 23
	v_lshlrev_b32_e32 v36, 23, v36
	v_alignbit_b32 v32, v33, v32, v37
	v_lshlrev_b32_e32 v33, 31, v58
	v_lshrrev_b32_e32 v32, 9, v32
	v_or_b32_e32 v37, 0x33000000, v33
	v_or_b32_e32 v33, 0.5, v33
	v_sub_nc_u32_e32 v34, v37, v34
	v_sub_nc_u32_e32 v33, v33, v36
	v_or_b32_e32 v32, v34, v32
	v_lshrrev_b32_e32 v34, 9, v54
	v_and_b32_e32 v54, 0x7fffffff, v16
	v_or_b32_e32 v33, v34, v33
	v_lshrrev_b32_e32 v7, 23, v54
	v_and_or_b32 v60, v54, s33, 0x800000
	v_mul_f32_e32 v34, 0x3fc90fda, v33
	v_add_nc_u32_e32 v7, 0xffffff88, v7
	v_fma_f32 v36, 0x3fc90fda, v33, -v34
	v_cmp_lt_u32_e32 vcc_lo, 63, v7
	v_fmac_f32_e32 v36, 0x33a22168, v33
	v_fmac_f32_e32 v36, 0x3fc90fda, v32
	v_cndmask_b32_e64 v32, 0, 0xffffffc0, vcc_lo
	v_add_f32_e32 v81, v34, v36
	v_add_nc_u32_e32 v7, v32, v7
	v_cmp_lt_u32_e64 s1, 31, v7
	v_cndmask_b32_e64 v32, 0, 0xffffffe0, s1
	v_add_nc_u32_e32 v7, v32, v7
	v_cmp_lt_u32_e64 s2, 31, v7
	v_cndmask_b32_e64 v32, 0, 0xffffffe0, s2
	v_add_nc_u32_e32 v61, v32, v7
	v_mad_u64_u32 v[32:33], null, 0xfe5163ab, v60, 0
	v_cmp_eq_u32_e64 s3, 0, v61
	v_mov_b32_e32 v7, v33
	v_mad_u64_u32 v[33:34], null, 0x3c439041, v60, v[7:8]
	v_mov_b32_e32 v7, v34
	v_mad_u64_u32 v[36:37], null, 0xdb629599, v60, v[7:8]
	v_mov_b32_e32 v7, v37
	v_cndmask_b32_e32 v32, v36, v32, vcc_lo
	v_mad_u64_u32 v[56:57], null, 0xf534ddc0, v60, v[7:8]
	v_mov_b32_e32 v7, v57
	v_cndmask_b32_e32 v33, v56, v33, vcc_lo
	v_mad_u64_u32 v[57:58], null, 0xfc2757d1, v60, v[7:8]
	v_cndmask_b32_e64 v32, v33, v32, s1
	v_mov_b32_e32 v7, v58
	v_mad_u64_u32 v[58:59], null, 0x4e441529, v60, v[7:8]
	v_mov_b32_e32 v7, v59
	v_cndmask_b32_e32 v34, v58, v56, vcc_lo
	v_mad_u64_u32 v[59:60], null, 0xa2f9836e, v60, v[7:8]
	v_cndmask_b32_e32 v7, v59, v57, vcc_lo
	v_cndmask_b32_e32 v58, v60, v58, vcc_lo
	;; [unrolled: 1-line block ×3, first 2 shown]
	v_cndmask_b32_e64 v37, v7, v34, s1
	v_cndmask_b32_e64 v7, v58, v7, s1
	;; [unrolled: 1-line block ×3, first 2 shown]
	v_sub_nc_u32_e32 v58, 32, v61
	v_cndmask_b32_e64 v56, v57, v33, s1
	v_cndmask_b32_e64 v7, v7, v37, s2
	;; [unrolled: 1-line block ×5, first 2 shown]
	v_alignbit_b32 v59, v7, v37, v58
	v_alignbit_b32 v57, v37, v34, v58
	;; [unrolled: 1-line block ×3, first 2 shown]
	v_cndmask_b32_e64 v7, v59, v7, s3
	v_cndmask_b32_e64 v37, v57, v37, s3
	;; [unrolled: 1-line block ×3, first 2 shown]
	v_bfe_u32 v60, v7, 29, 1
	v_lshrrev_b32_e32 v59, 29, v7
	v_alignbit_b32 v57, v7, v37, 30
	v_alignbit_b32 v34, v37, v33, 30
	;; [unrolled: 1-line block ×3, first 2 shown]
	v_sub_nc_u32_e32 v61, 0, v60
	v_lshrrev_b32_e32 v7, 30, v7
	v_xor_b32_e32 v57, v57, v61
	v_xor_b32_e32 v34, v34, v61
	;; [unrolled: 1-line block ×3, first 2 shown]
	v_ffbh_u32_e32 v36, v57
	v_min_u32_e32 v36, 32, v36
	v_sub_nc_u32_e32 v37, 31, v36
	v_alignbit_b32 v56, v57, v34, v37
	v_alignbit_b32 v32, v34, v32, v37
	v_add_nc_u32_e32 v57, v60, v7
	v_mul_f32_e64 v7, 0x3f22f983, |v16|
	v_alignbit_b32 v33, v56, v32, 9
	v_rndne_f32_e32 v7, v7
	v_ffbh_u32_e32 v34, v33
	v_fma_f32 v58, 0xbfc90fda, v7, |v16|
	v_cvt_i32_f32_e32 v76, v7
	v_min_u32_e32 v34, 32, v34
	v_fmac_f32_e32 v58, 0xb3a22168, v7
	v_not_b32_e32 v37, v34
	v_add_lshl_u32 v34, v34, v36, 23
	v_lshlrev_b32_e32 v36, 23, v36
	v_fmac_f32_e32 v58, 0xa7c234c4, v7
	v_div_scale_f32 v7, null, 0x40490fdb, 0x40490fdb, v17
	v_alignbit_b32 v32, v33, v32, v37
	v_lshlrev_b32_e32 v33, 31, v59
	v_mul_f32_e32 v59, 0x40490fdb, v16
	v_lshrrev_b32_e32 v32, 9, v32
	v_or_b32_e32 v37, 0x33000000, v33
	v_or_b32_e32 v33, 0.5, v33
	v_and_b32_e32 v60, 0x7fffffff, v59
	v_cmp_gt_f32_e64 s1, 0x48000000, |v59|
	v_sub_nc_u32_e32 v34, v37, v34
	v_sub_nc_u32_e32 v33, v33, v36
	v_and_or_b32 v66, v60, s33, 0x800000
	v_or_b32_e32 v32, v34, v32
	v_lshrrev_b32_e32 v34, 9, v56
	v_or_b32_e32 v33, v34, v33
	v_mul_f32_e32 v34, 0x3fc90fda, v33
	v_fma_f32 v36, 0x3fc90fda, v33, -v34
	v_fmac_f32_e32 v36, 0x33a22168, v33
	v_fmac_f32_e32 v36, 0x3fc90fda, v32
	v_rcp_f32_e32 v32, v7
	v_add_f32_e32 v56, v34, v36
	v_fma_f32 v33, -v7, v32, 1.0
	v_fmac_f32_e32 v32, v33, v32
	v_div_scale_f32 v33, vcc_lo, v17, 0x40490fdb, v17
	v_mul_f32_e32 v34, v33, v32
	v_fma_f32 v36, -v7, v34, v33
	v_fmac_f32_e32 v34, v36, v32
	v_fma_f32 v7, -v7, v34, v33
	v_div_fmas_f32 v7, v7, v32, v34
	v_div_fixup_f32 v32, v7, 0x40490fdb, v17
	v_lshrrev_b32_e32 v7, 23, v60
	v_add_nc_u32_e32 v7, 0xffffff88, v7
	v_cmp_lt_u32_e32 vcc_lo, 63, v7
	v_cndmask_b32_e64 v33, 0, 0xffffffc0, vcc_lo
	v_add_nc_u32_e32 v7, v33, v7
	v_cmp_lt_u32_e64 s2, 31, v7
	v_cndmask_b32_e64 v33, 0, 0xffffffe0, s2
	v_add_nc_u32_e32 v7, v33, v7
	v_cmp_lt_u32_e64 s3, 31, v7
	v_cndmask_b32_e64 v33, 0, 0xffffffe0, s3
	v_add_nc_u32_e32 v67, v33, v7
	v_mad_u64_u32 v[33:34], null, 0xfe5163ab, v66, 0
	v_cmp_eq_u32_e64 s4, 0, v67
	v_mov_b32_e32 v7, v34
	v_mad_u64_u32 v[36:37], null, 0x3c439041, v66, v[7:8]
	v_mov_b32_e32 v7, v37
	v_mad_u64_u32 v[61:62], null, 0xdb629599, v66, v[7:8]
	v_mov_b32_e32 v7, v62
	v_cndmask_b32_e32 v33, v61, v33, vcc_lo
	v_mad_u64_u32 v[62:63], null, 0xf534ddc0, v66, v[7:8]
	v_mov_b32_e32 v7, v63
	v_cndmask_b32_e32 v36, v62, v36, vcc_lo
	v_mad_u64_u32 v[63:64], null, 0xfc2757d1, v66, v[7:8]
	v_cndmask_b32_e64 v33, v36, v33, s2
	v_mov_b32_e32 v7, v64
	v_mad_u64_u32 v[64:65], null, 0x4e441529, v66, v[7:8]
	v_mov_b32_e32 v7, v65
	v_cndmask_b32_e32 v34, v64, v62, vcc_lo
	v_mad_u64_u32 v[65:66], null, 0xa2f9836e, v66, v[7:8]
	v_cndmask_b32_e32 v7, v65, v63, vcc_lo
	v_cndmask_b32_e32 v64, v66, v64, vcc_lo
	;; [unrolled: 1-line block ×3, first 2 shown]
	v_cndmask_b32_e64 v37, v7, v34, s2
	v_cndmask_b32_e64 v7, v64, v7, s2
	;; [unrolled: 1-line block ×3, first 2 shown]
	v_sub_nc_u32_e32 v64, 32, v67
	v_cndmask_b32_e64 v62, v63, v36, s2
	v_cmp_class_f32_e64 s2, v59, 0x1f8
	v_cndmask_b32_e64 v7, v7, v37, s3
	v_cndmask_b32_e64 v37, v37, v34, s3
	v_cndmask_b32_e64 v34, v34, v62, s3
	v_cndmask_b32_e64 v33, v62, v33, s3
	v_alignbit_b32 v65, v7, v37, v64
	v_alignbit_b32 v63, v37, v34, v64
	;; [unrolled: 1-line block ×3, first 2 shown]
	v_cndmask_b32_e64 v7, v65, v7, s4
	v_cndmask_b32_e64 v37, v63, v37, s4
	;; [unrolled: 1-line block ×3, first 2 shown]
	v_bfe_u32 v66, v7, 29, 1
	v_lshrrev_b32_e32 v65, 29, v7
	v_alignbit_b32 v63, v7, v37, 30
	v_alignbit_b32 v36, v37, v34, 30
	;; [unrolled: 1-line block ×3, first 2 shown]
	v_sub_nc_u32_e32 v67, 0, v66
	v_lshrrev_b32_e32 v7, 30, v7
	v_xor_b32_e32 v63, v63, v67
	v_xor_b32_e32 v36, v36, v67
	;; [unrolled: 1-line block ×3, first 2 shown]
	v_add_nc_u32_e32 v64, v66, v7
	v_mul_f32_e64 v7, 0x3f22f983, |v59|
	v_ffbh_u32_e32 v37, v63
	v_rndne_f32_e32 v7, v7
	v_min_u32_e32 v37, 32, v37
	v_cvt_i32_f32_e32 v66, v7
	v_sub_nc_u32_e32 v61, 31, v37
	v_cndmask_b32_e64 v64, v64, v66, s1
	v_alignbit_b32 v62, v63, v36, v61
	v_alignbit_b32 v33, v36, v33, v61
	;; [unrolled: 1-line block ×3, first 2 shown]
	v_ffbh_u32_e32 v36, v34
	v_min_u32_e32 v36, 32, v36
	v_not_b32_e32 v61, v36
	v_add_lshl_u32 v36, v36, v37, 23
	v_lshlrev_b32_e32 v37, 23, v37
	v_alignbit_b32 v33, v34, v33, v61
	v_lshlrev_b32_e32 v34, 31, v65
	v_fma_f32 v65, 0xbfc90fda, v7, |v59|
	v_lshrrev_b32_e32 v33, 9, v33
	v_or_b32_e32 v61, 0x33000000, v34
	v_or_b32_e32 v34, 0.5, v34
	v_fmac_f32_e32 v65, 0xb3a22168, v7
	v_sub_nc_u32_e32 v36, v61, v36
	v_sub_nc_u32_e32 v34, v34, v37
	v_mul_f32_e32 v61, v16, v17
	v_fmac_f32_e32 v65, 0xa7c234c4, v7
	v_or_b32_e32 v33, v36, v33
	v_lshrrev_b32_e32 v36, 9, v62
	v_and_b32_e32 v62, 0x7fffffff, v61
	v_cmp_gt_f32_e64 s3, 0x48000000, |v61|
	v_or_b32_e32 v34, v36, v34
	v_lshrrev_b32_e32 v7, 23, v62
	v_and_or_b32 v72, v62, s33, 0x800000
	v_mul_f32_e32 v36, 0x3fc90fda, v34
	v_add_nc_u32_e32 v7, 0xffffff88, v7
	v_fma_f32 v37, 0x3fc90fda, v34, -v36
	v_cmp_lt_u32_e32 vcc_lo, 63, v7
	v_fmac_f32_e32 v37, 0x33a22168, v34
	v_fmac_f32_e32 v37, 0x3fc90fda, v33
	v_cndmask_b32_e64 v33, 0, 0xffffffc0, vcc_lo
	v_add_f32_e32 v63, v36, v37
	v_add_nc_u32_e32 v7, v33, v7
	v_cndmask_b32_e64 v63, v63, v65, s1
	v_cmp_lt_u32_e64 s4, 31, v7
	v_mul_f32_e32 v65, v63, v63
	v_cndmask_b32_e64 v33, 0, 0xffffffe0, s4
	v_add_nc_u32_e32 v7, v33, v7
	v_cmp_lt_u32_e64 s5, 31, v7
	v_cndmask_b32_e64 v33, 0, 0xffffffe0, s5
	v_add_nc_u32_e32 v73, v33, v7
	v_mad_u64_u32 v[33:34], null, 0xfe5163ab, v72, 0
	v_cmp_eq_u32_e64 s6, 0, v73
	v_mov_b32_e32 v7, v34
	v_mad_u64_u32 v[36:37], null, 0x3c439041, v72, v[7:8]
	v_mov_b32_e32 v7, v37
	v_mad_u64_u32 v[67:68], null, 0xdb629599, v72, v[7:8]
	v_mov_b32_e32 v7, v68
	v_cndmask_b32_e32 v33, v67, v33, vcc_lo
	v_mad_u64_u32 v[68:69], null, 0xf534ddc0, v72, v[7:8]
	v_mov_b32_e32 v7, v69
	v_cndmask_b32_e32 v36, v68, v36, vcc_lo
	v_mad_u64_u32 v[69:70], null, 0xfc2757d1, v72, v[7:8]
	v_cndmask_b32_e64 v33, v36, v33, s4
	v_mov_b32_e32 v7, v70
	v_mad_u64_u32 v[70:71], null, 0x4e441529, v72, v[7:8]
	v_mov_b32_e32 v7, v71
	v_cndmask_b32_e32 v34, v70, v68, vcc_lo
	v_mad_u64_u32 v[71:72], null, 0xa2f9836e, v72, v[7:8]
	v_cndmask_b32_e32 v7, v71, v69, vcc_lo
	v_cndmask_b32_e32 v70, v72, v70, vcc_lo
	;; [unrolled: 1-line block ×3, first 2 shown]
	v_cndmask_b32_e64 v37, v7, v34, s4
	v_cndmask_b32_e64 v7, v70, v7, s4
	;; [unrolled: 1-line block ×3, first 2 shown]
	v_sub_nc_u32_e32 v70, 32, v73
	v_cndmask_b32_e64 v68, v69, v36, s4
	v_cmp_class_f32_e64 s4, v61, 0x1f8
	v_cndmask_b32_e64 v7, v7, v37, s5
	v_cndmask_b32_e64 v37, v37, v34, s5
	;; [unrolled: 1-line block ×4, first 2 shown]
	v_cmp_gt_f32_e64 s5, 0x48000000, |v0|
	v_alignbit_b32 v71, v7, v37, v70
	v_alignbit_b32 v69, v37, v34, v70
	;; [unrolled: 1-line block ×3, first 2 shown]
	v_cndmask_b32_e64 v7, v71, v7, s6
	v_cndmask_b32_e64 v37, v69, v37, s6
	;; [unrolled: 1-line block ×3, first 2 shown]
	v_bfe_u32 v72, v7, 29, 1
	v_lshrrev_b32_e32 v71, 29, v7
	v_alignbit_b32 v69, v7, v37, 30
	v_alignbit_b32 v36, v37, v34, 30
	;; [unrolled: 1-line block ×3, first 2 shown]
	v_sub_nc_u32_e32 v73, 0, v72
	v_lshrrev_b32_e32 v7, 30, v7
	v_xor_b32_e32 v69, v69, v73
	v_xor_b32_e32 v36, v36, v73
	;; [unrolled: 1-line block ×3, first 2 shown]
	v_ffbh_u32_e32 v37, v69
	v_min_u32_e32 v37, 32, v37
	v_sub_nc_u32_e32 v67, 31, v37
	v_alignbit_b32 v68, v69, v36, v67
	v_alignbit_b32 v33, v36, v33, v67
	v_add_nc_u32_e32 v69, v72, v7
	v_mul_f32_e64 v7, 0x3f22f983, |v61|
	v_alignbit_b32 v34, v68, v33, 9
	v_rndne_f32_e32 v7, v7
	v_ffbh_u32_e32 v36, v34
	v_fma_f32 v70, 0xbfc90fda, v7, |v61|
	v_min_u32_e32 v36, 32, v36
	v_fmac_f32_e32 v70, 0xb3a22168, v7
	v_not_b32_e32 v67, v36
	v_add_lshl_u32 v36, v36, v37, 23
	v_lshlrev_b32_e32 v37, 23, v37
	v_fmac_f32_e32 v70, 0xa7c234c4, v7
	v_alignbit_b32 v33, v34, v33, v67
	v_lshlrev_b32_e32 v34, 31, v71
	v_cvt_i32_f32_e32 v71, v7
	v_sub_f32_e32 v7, v15, v3
	v_lshrrev_b32_e32 v33, 9, v33
	v_or_b32_e32 v67, 0x33000000, v34
	v_or_b32_e32 v34, 0.5, v34
	v_sub_nc_u32_e32 v36, v67, v36
	v_sub_nc_u32_e32 v34, v34, v37
	v_and_b32_e32 v67, 0x7fffffff, v0
	v_or_b32_e32 v33, v36, v33
	v_lshrrev_b32_e32 v36, 9, v68
	v_and_or_b32 v118, v67, s33, 0x800000
	v_or_b32_e32 v34, v36, v34
	v_mul_f32_e32 v36, 0x3fc90fda, v34
	v_fma_f32 v37, 0x3fc90fda, v34, -v36
	v_fmac_f32_e32 v37, 0x33a22168, v34
	v_add_f32_e32 v34, v15, v3
	v_fmac_f32_e32 v37, 0x3fc90fda, v33
	v_mul_f32_e32 v7, v7, v34
	v_add_f32_e32 v33, -1.0, v16
	v_add_f32_e32 v68, v36, v37
	v_mul_f32_e32 v34, v7, v35
	v_mul_f32_e32 v7, v28, v3
	;; [unrolled: 1-line block ×3, first 2 shown]
	v_lshrrev_b32_e32 v7, 23, v67
	v_add_nc_u32_e32 v7, 0xffffff88, v7
	v_cmp_lt_u32_e32 vcc_lo, 63, v7
	v_cndmask_b32_e64 v36, 0, 0xffffffc0, vcc_lo
	v_add_nc_u32_e32 v7, v36, v7
	v_cmp_lt_u32_e64 s6, 31, v7
	v_cndmask_b32_e64 v36, 0, 0xffffffe0, s6
	v_add_nc_u32_e32 v7, v36, v7
	v_cmp_lt_u32_e64 s26, 31, v7
	v_cndmask_b32_e64 v36, 0, 0xffffffe0, s26
	v_add_nc_u32_e32 v119, v36, v7
	v_mad_u64_u32 v[36:37], null, 0xfe5163ab, v118, 0
	v_cmp_eq_u32_e64 s27, 0, v119
	v_mov_b32_e32 v7, v37
	v_mad_u64_u32 v[72:73], null, 0x3c439041, v118, v[7:8]
	v_mov_b32_e32 v7, v73
	v_mad_u64_u32 v[73:74], null, 0xdb629599, v118, v[7:8]
	v_mov_b32_e32 v7, v74
	v_cndmask_b32_e32 v36, v73, v36, vcc_lo
	v_mad_u64_u32 v[74:75], null, 0xf534ddc0, v118, v[7:8]
	v_mov_b32_e32 v7, v75
	v_cndmask_b32_e32 v72, v74, v72, vcc_lo
	v_mad_u64_u32 v[115:116], null, 0xfc2757d1, v118, v[7:8]
	v_cndmask_b32_e64 v36, v72, v36, s6
	v_mov_b32_e32 v7, v116
	v_mad_u64_u32 v[116:117], null, 0x4e441529, v118, v[7:8]
	v_mov_b32_e32 v7, v117
	v_cndmask_b32_e32 v37, v116, v74, vcc_lo
	v_mad_u64_u32 v[117:118], null, 0xa2f9836e, v118, v[7:8]
	v_cndmask_b32_e32 v7, v117, v115, vcc_lo
	v_cndmask_b32_e32 v116, v118, v116, vcc_lo
	v_cndmask_b32_e32 v115, v115, v73, vcc_lo
	v_cndmask_b32_e64 v75, v7, v37, s6
	v_cndmask_b32_e64 v7, v116, v7, s6
	;; [unrolled: 1-line block ×3, first 2 shown]
	v_sub_nc_u32_e32 v116, 32, v119
	v_cndmask_b32_e64 v74, v115, v72, s6
	v_cmp_class_f32_e64 s6, v0, 0x1f8
	v_cndmask_b32_e64 v7, v7, v75, s26
	v_cndmask_b32_e64 v75, v75, v37, s26
	;; [unrolled: 1-line block ×4, first 2 shown]
	v_alignbit_b32 v117, v7, v75, v116
	v_alignbit_b32 v115, v75, v37, v116
	;; [unrolled: 1-line block ×3, first 2 shown]
	v_cndmask_b32_e64 v7, v117, v7, s27
	v_cndmask_b32_e64 v75, v115, v75, s27
	;; [unrolled: 1-line block ×3, first 2 shown]
	s_mov_b32 s27, 0xb94c1982
	v_bfe_u32 v118, v7, 29, 1
	v_lshrrev_b32_e32 v117, 29, v7
	v_alignbit_b32 v115, v7, v75, 30
	v_alignbit_b32 v72, v75, v37, 30
	;; [unrolled: 1-line block ×3, first 2 shown]
	v_sub_nc_u32_e32 v119, 0, v118
	v_lshrrev_b32_e32 v7, 30, v7
	v_fmaak_f32 v66, s27, v65, 0x3c0881c4
	v_xor_b32_e32 v115, v115, v119
	v_xor_b32_e32 v72, v72, v119
	;; [unrolled: 1-line block ×3, first 2 shown]
	v_fmaak_f32 v66, v65, v66, 0xbe2aaa9d
	v_ffbh_u32_e32 v73, v115
	v_mul_f32_e32 v66, v65, v66
	v_min_u32_e32 v73, 32, v73
	v_fmac_f32_e32 v63, v63, v66
	v_fmaak_f32 v66, s38, v65, 0xbab64f3b
	v_sub_nc_u32_e32 v74, 31, v73
	v_fmaak_f32 v66, v65, v66, 0x3d2aabf7
	v_alignbit_b32 v75, v115, v72, v74
	v_alignbit_b32 v36, v72, v36, v74
	v_fmaak_f32 v66, v65, v66, 0xbf000004
	v_alignbit_b32 v37, v75, v36, 9
	v_fma_f32 v65, v65, v66, 1.0
	v_and_b32_e32 v66, 1, v64
	v_ffbh_u32_e32 v72, v37
	v_lshlrev_b32_e32 v64, 30, v64
	v_min_u32_e32 v72, 32, v72
	v_and_b32_e32 v64, 0x80000000, v64
	v_not_b32_e32 v74, v72
	v_add_lshl_u32 v72, v72, v73, 23
	v_lshlrev_b32_e32 v73, 23, v73
	v_alignbit_b32 v36, v37, v36, v74
	v_lshlrev_b32_e32 v37, 31, v117
	v_lshrrev_b32_e32 v36, 9, v36
	v_or_b32_e32 v74, 0x33000000, v37
	v_or_b32_e32 v37, 0.5, v37
	v_sub_nc_u32_e32 v72, v74, v72
	v_sub_nc_u32_e32 v37, v37, v73
	v_or_b32_e32 v36, v72, v36
	v_lshrrev_b32_e32 v72, 9, v75
	v_or_b32_e32 v37, v72, v37
	v_mul_f32_e32 v72, 0x3fc90fda, v37
	v_fma_f32 v73, 0x3fc90fda, v37, -v72
	v_fmac_f32_e32 v73, 0x33a22168, v37
	v_fmac_f32_e32 v73, 0x3fc90fda, v36
	v_add_f32_e32 v72, v72, v73
	v_add_nc_u32_e32 v73, v118, v7
	v_mul_f32_e64 v7, 0x3f22f983, |v0|
	v_rndne_f32_e32 v7, v7
	v_fma_f32 v74, 0xbfc90fda, v7, |v0|
	v_cvt_i32_f32_e32 v75, v7
	v_fmac_f32_e32 v74, 0xb3a22168, v7
	v_fmac_f32_e32 v74, 0xa7c234c4, v7
	v_div_scale_f32 v7, null, v0, v0, v15
	v_rcp_f32_e32 v36, v7
	v_fma_f32 v37, -v7, v36, 1.0
	v_fmac_f32_e32 v36, v37, v36
	v_div_scale_f32 v37, vcc_lo, v15, v0, v15
	v_mul_f32_e32 v115, v37, v36
	v_fma_f32 v116, -v7, v115, v37
	v_fmac_f32_e32 v115, v116, v36
	v_fma_f32 v7, -v7, v115, v37
	v_div_fmas_f32 v7, v7, v36, v115
	v_div_fixup_f32 v36, v7, v0, v15
	v_div_scale_f32 v7, null, v0, v0, v3
	v_rcp_f32_e32 v37, v7
	v_fma_f32 v115, -v7, v37, 1.0
	v_fmac_f32_e32 v37, v115, v37
	v_div_scale_f32 v115, vcc_lo, v3, v0, v3
	v_mul_f32_e32 v116, v115, v37
	v_fma_f32 v117, -v7, v116, v115
	v_fmac_f32_e32 v116, v117, v37
	v_fma_f32 v7, -v7, v116, v115
	v_div_fmas_f32 v7, v7, v37, v116
	v_div_fixup_f32 v37, v7, v0, v3
	v_cndmask_b32_e64 v7, v39, v41, s16
	v_cndmask_b32_e64 v39, v40, v43, s16
	v_mul_f32_e32 v40, v7, v7
	v_fmaak_f32 v41, s27, v40, 0x3c0881c4
	v_fmaak_f32 v41, v40, v41, 0xbe2aaa9d
	v_mul_f32_e32 v41, v40, v41
	v_fmac_f32_e32 v7, v7, v41
	v_fmaak_f32 v41, s38, v40, 0xbab64f3b
	v_fmaak_f32 v41, v40, v41, 0x3d2aabf7
	;; [unrolled: 1-line block ×3, first 2 shown]
	v_fma_f32 v41, v40, v41, 1.0
	v_and_b32_e32 v40, 1, v39
	v_lshlrev_b32_e32 v39, 30, v39
	v_cmp_eq_u32_e64 s16, 0, v40
	v_and_b32_e32 v43, 0x80000000, v39
	v_cndmask_b32_e64 v39, v47, v44, s18
	v_cndmask_b32_e64 v44, v45, v44, s18
	;; [unrolled: 1-line block ×3, first 2 shown]
	v_or_b32_e32 v38, v43, v38
	v_and_b32_e32 v115, 1, v39
	v_lshlrev_b32_e32 v39, 30, v39
	v_and_b32_e32 v44, 1, v44
	v_cndmask_b32_e64 v7, -v7, v41, s16
	v_xor3_b32 v38, v38, v15, v40
	v_cndmask_b32_e64 v40, v46, v48, s18
	v_cmp_eq_u32_e64 s26, 0, v115
	v_and_b32_e32 v116, 0x80000000, v39
	v_xor_b32_e32 v7, v43, v7
	v_cndmask_b32_e64 v38, 0x7fc00000, v38, s17
	v_mul_f32_e32 v46, v40, v40
	v_cndmask_b32_e64 v43, v97, v99, s20
	v_cndmask_b32_e64 v41, 0x7fc00000, v7, s17
	v_fmaak_f32 v47, s27, v46, 0x3c0881c4
	v_fmaak_f32 v48, s38, v46, 0xbab64f3b
	;; [unrolled: 1-line block ×5, first 2 shown]
	v_mul_f32_e32 v47, v46, v47
	v_fmaak_f32 v48, v46, v48, 0xbf000004
	v_fma_f32 v47, v40, v47, v40
	v_fma_f32 v48, v46, v48, 1.0
	v_cndmask_b32_e64 v115, -v47, v48, s26
	v_cndmask_b32_e64 v7, v48, v47, s26
	v_xor_b32_e32 v39, v116, v115
	v_cndmask_b32_e64 v39, 0x7fc00000, v39, s19
	v_div_scale_f32 v115, null, v39, v39, v38
	v_rcp_f32_e32 v117, v115
	v_fma_f32 v118, -v115, v117, 1.0
	v_fmac_f32_e32 v117, v118, v117
	v_div_scale_f32 v118, vcc_lo, v38, v39, v38
	v_mul_f32_e32 v119, v118, v117
	v_fma_f32 v120, -v115, v119, v118
	v_fmac_f32_e32 v119, v120, v117
	v_fma_f32 v115, -v115, v119, v118
	v_div_fmas_f32 v115, v115, v117, v119
	v_cmp_eq_u32_e32 vcc_lo, 0, v44
	v_div_fixup_f32 v39, v115, v39, v38
	v_fmaak_f32 v115, s40, v46, 0xbf039337
	v_fmaak_f32 v115, v46, v115, 0x3f93f425
	v_rcp_f32_e32 v115, v115
	v_mul_f32_e32 v45, v45, v115
	v_mul_f32_e32 v45, v46, v45
	v_fma_f32 v46, v45, v40, v40
	v_sub_f32_e32 v115, v46, v40
	v_fma_f32 v40, v45, v40, -v115
	v_rcp_f32_e32 v45, v46
	v_fma_f32 v115, v46, -v45, 1.0
	v_fma_f32 v40, v40, -v45, v115
	v_fma_f32 v40, v40, -v45, -v45
	v_cndmask_b32_e32 v40, v40, v46, vcc_lo
	v_cndmask_b32_e64 v46, v103, v105, s22
	v_xor3_b32 v40, v3, v40, v42
	v_or_b32_e32 v42, v116, v42
	v_mul_f32_e32 v48, v46, v46
	v_cndmask_b32_e64 v40, 0x7fc00000, v40, s19
	v_xor3_b32 v7, v42, v7, v3
	v_cndmask_b32_e64 v42, 0x7fc00000, v7, s19
	v_cndmask_b32_e64 v7, v50, v98, s20
	v_fmaak_f32 v50, s27, v48, 0x3c0881c4
	s_mov_b32 s19, 0x3e76c4e1
	v_mul_f32_e32 v44, v7, v7
	v_fmaak_f32 v50, v48, v50, 0xbe2aaa9d
	v_fmaak_f32 v45, s27, v44, 0x3c0881c4
	v_mul_f32_e32 v50, v48, v50
	v_fmaak_f32 v45, v44, v45, 0xbe2aaa9d
	v_fmac_f32_e32 v46, v46, v50
	v_fmaak_f32 v50, s38, v48, 0xbab64f3b
	v_mul_f32_e32 v45, v44, v45
	v_fmaak_f32 v50, v48, v50, 0x3d2aabf7
	v_fmac_f32_e32 v7, v7, v45
	v_fmaak_f32 v45, s38, v44, 0xbab64f3b
	v_fmaak_f32 v50, v48, v50, 0xbf000004
	;; [unrolled: 1-line block ×3, first 2 shown]
	v_fma_f32 v48, v48, v50, 1.0
	v_fmaak_f32 v45, v44, v45, 0xbf000004
	v_fma_f32 v44, v44, v45, 1.0
	v_and_b32_e32 v45, 1, v43
	v_lshlrev_b32_e32 v43, 30, v43
	v_cmp_eq_u32_e32 vcc_lo, 0, v45
	v_and_b32_e32 v47, 0x80000000, v43
	v_cndmask_b32_e64 v45, -v7, v44, vcc_lo
	v_cndmask_b32_e32 v7, v44, v7, vcc_lo
	v_xor_b32_e32 v43, v47, v45
	v_xor_b32_e32 v44, v7, v17
	v_cndmask_b32_e64 v45, v104, v106, s22
	v_cndmask_b32_e64 v43, 0x7fc00000, v43, s21
	v_xor3_b32 v44, v44, v49, v47
	v_and_b32_e32 v50, 1, v45
	v_or_b32_e32 v47, v47, v49
	v_lshlrev_b32_e32 v45, 30, v45
	v_cndmask_b32_e64 v44, 0x7fc00000, v44, s21
	v_cmp_eq_u32_e32 vcc_lo, 0, v50
	v_xor3_b32 v7, v47, v17, v7
	v_and_b32_e32 v97, 0x80000000, v45
	v_cndmask_b32_e64 v50, -v46, v48, vcc_lo
	v_cndmask_b32_e32 v46, v48, v46, vcc_lo
	v_cndmask_b32_e64 v7, 0x7fc00000, v7, s21
	v_cmp_neq_f32_e32 vcc_lo, 1.0, v16
	v_xor_b32_e32 v45, v97, v50
	v_xor_b32_e32 v46, v100, v46
	v_cndmask_b32_e32 v49, 1.0, v7, vcc_lo
	v_cndmask_b32_e64 v45, 0x7fc00000, v45, s23
	v_xor3_b32 v46, v46, v101, v97
	v_cmp_neq_f32_e32 vcc_lo, 0, v49
	v_cmp_neq_f32_e64 s17, v49, |v49|
	v_mul_f32_e32 v45, v45, v107
	v_cndmask_b32_e64 v46, 0xffc00000, -v46, s23
	v_cndmask_b32_e32 v50, 1.0, v16, vcc_lo
	v_mul_f32_e32 v46, v46, v108
	v_frexp_mant_f32_e64 v47, |v50|
	v_cmp_lt_f32_e64 s18, |v50|, 1.0
	v_cmp_gt_f32_e32 vcc_lo, 0x3f2aaaab, v47
	s_xor_b32 s17, s17, s18
	v_cmp_gt_f32_e64 s18, 0, v49
	v_cndmask_b32_e64 v48, 1.0, 2.0, vcc_lo
	v_mul_f32_e32 v47, v47, v48
	v_add_f32_e32 v97, 1.0, v47
	v_add_f32_e32 v48, -1.0, v47
	v_add_f32_e32 v98, -1.0, v97
	v_sub_f32_e32 v47, v47, v98
	v_rcp_f32_e32 v98, v97
	v_mul_f32_e32 v99, v48, v98
	v_mul_f32_e32 v100, v97, v99
	v_fma_f32 v97, v99, v97, -v100
	v_fmac_f32_e32 v97, v99, v47
	v_add_f32_e32 v47, v100, v97
	v_sub_f32_e32 v101, v48, v47
	v_sub_f32_e32 v100, v47, v100
	;; [unrolled: 1-line block ×5, first 2 shown]
	v_add_f32_e32 v47, v48, v47
	v_add_f32_e32 v47, v101, v47
	v_mul_f32_e32 v47, v98, v47
	v_add_f32_e32 v97, v99, v47
	v_sub_f32_e32 v48, v97, v99
	v_sub_f32_e32 v98, v47, v48
	v_mul_f32_e32 v47, v97, v97
	v_add_f32_e32 v99, v98, v98
	v_fma_f32 v48, v97, v97, -v47
	v_fmac_f32_e32 v48, v97, v99
	v_add_f32_e32 v99, v47, v48
	v_sub_f32_e32 v47, v99, v47
	v_fmaak_f32 v100, s19, v99, 0x3e91f4c4
	v_sub_f32_e32 v47, v48, v47
	v_mul_f32_e32 v48, v97, v99
	v_fmaak_f32 v100, v99, v100, 0x3ecccdef
	v_fma_f32 v101, v99, v97, -v48
	v_fmac_f32_e32 v101, v99, v98
	v_fmac_f32_e32 v101, v47, v97
	v_ldexp_f32 v97, v97, 1
	v_add_f32_e32 v103, v48, v101
	v_sub_f32_e32 v48, v103, v48
	v_sub_f32_e32 v48, v101, v48
	v_mul_f32_e32 v101, v99, v100
	v_fma_f32 v99, v99, v100, -v101
	v_fmac_f32_e32 v99, v47, v100
	v_add_f32_e32 v47, v101, v99
	v_add_f32_e32 v100, 0x3f2aaaaa, v47
	v_sub_f32_e32 v101, v47, v101
	v_sub_f32_e32 v99, v99, v101
	v_add_f32_e32 v101, 0xbf2aaaaa, v100
	v_add_f32_e32 v99, 0x31739010, v99
	v_sub_f32_e32 v47, v47, v101
	v_add_f32_e32 v47, v99, v47
	v_add_f32_e32 v99, v100, v47
	v_sub_f32_e32 v100, v100, v99
	v_add_f32_e32 v47, v47, v100
	v_mul_f32_e32 v100, v103, v99
	v_fma_f32 v101, v103, v99, -v100
	v_fmac_f32_e32 v101, v103, v47
	v_fmac_f32_e32 v101, v48, v99
	v_cvt_f64_f32_e64 v[47:48], |v50|
	v_frexp_exp_i32_f64_e32 v47, v[47:48]
	v_subrev_co_ci_u32_e64 v47, null, 0, v47, vcc_lo
	v_cvt_f32_i32_e32 v47, v47
	v_mul_f32_e32 v48, 0x3f317218, v47
	v_fma_f32 v99, 0x3f317218, v47, -v48
	v_fmac_f32_e32 v99, 0xb102e308, v47
	v_ldexp_f32 v47, v98, 1
	v_add_f32_e32 v98, v48, v99
	v_sub_f32_e32 v48, v98, v48
	v_sub_f32_e32 v48, v99, v48
	v_add_f32_e32 v99, v100, v101
	v_sub_f32_e32 v100, v99, v100
	v_sub_f32_e32 v100, v101, v100
	v_add_f32_e32 v101, v97, v99
	v_add_f32_e32 v47, v47, v100
	v_sub_f32_e32 v97, v101, v97
	v_sub_f32_e32 v97, v99, v97
	v_add_f32_e32 v47, v47, v97
	v_add_f32_e32 v97, v101, v47
	v_sub_f32_e32 v99, v97, v101
	v_sub_f32_e32 v47, v47, v99
	v_add_f32_e32 v99, v98, v97
	v_sub_f32_e32 v100, v99, v98
	v_sub_f32_e32 v101, v99, v100
	;; [unrolled: 1-line block ×4, first 2 shown]
	v_add_f32_e32 v97, v97, v98
	v_add_f32_e32 v98, v48, v47
	v_sub_f32_e32 v100, v98, v48
	v_sub_f32_e32 v101, v98, v100
	;; [unrolled: 1-line block ×4, first 2 shown]
	v_add_f32_e32 v47, v47, v48
	v_add_f32_e32 v48, v98, v97
	;; [unrolled: 1-line block ×3, first 2 shown]
	v_sub_f32_e32 v98, v97, v99
	v_sub_f32_e32 v48, v48, v98
	v_add_f32_e32 v47, v47, v48
	v_add_f32_e32 v48, v97, v47
	v_sub_f32_e32 v97, v48, v97
	v_sub_f32_e32 v47, v47, v97
	v_mul_f32_e32 v97, v49, v48
	v_fma_f32 v48, v49, v48, -v97
	v_cmp_class_f32_e64 vcc_lo, v97, 0x204
	v_fmac_f32_e32 v48, v49, v47
	v_add_f32_e32 v47, v97, v48
	v_sub_f32_e32 v98, v47, v97
	v_cndmask_b32_e32 v47, v47, v97, vcc_lo
	v_sub_f32_e32 v48, v48, v98
	v_cmp_neq_f32_e64 vcc_lo, 0x7f800000, |v47|
	v_cndmask_b32_e32 v48, 0, v48, vcc_lo
	v_cmp_eq_f32_e32 vcc_lo, 0x42b17218, v47
	v_cndmask_b32_e64 v97, 0, 0x37000000, vcc_lo
	v_sub_f32_e32 v47, v47, v97
	v_add_f32_e32 v48, v97, v48
	v_mul_f32_e32 v97, 0x3fb8aa3b, v47
	v_cmp_ngt_f32_e32 vcc_lo, 0xc2ce8ed0, v47
	v_fma_f32 v98, 0x3fb8aa3b, v47, -v97
	v_rndne_f32_e32 v99, v97
	v_fmac_f32_e32 v98, 0x32a5705f, v47
	v_sub_f32_e32 v97, v97, v99
	v_add_f32_e32 v97, v97, v98
	v_cvt_i32_f32_e32 v98, v99
	v_exp_f32_e32 v97, v97
	v_ldexp_f32 v97, v97, v98
	v_cndmask_b32_e32 v97, 0, v97, vcc_lo
	v_cmp_nlt_f32_e32 vcc_lo, 0x42b17218, v47
	v_cndmask_b32_e32 v47, 0x7f800000, v97, vcc_lo
	v_fma_f32 v48, v47, v48, v47
	v_cmp_class_f32_e64 vcc_lo, v47, 0x204
	v_cndmask_b32_e32 v47, v48, v47, vcc_lo
	v_trunc_f32_e32 v48, v49
	v_cmp_eq_f32_e32 vcc_lo, v48, v49
	v_mul_f32_e32 v48, 0.5, v49
	v_trunc_f32_e32 v97, v48
	v_cmp_neq_f32_e64 s16, v97, v48
	s_and_b32 vcc_lo, vcc_lo, s16
	v_cmp_class_f32_e64 s16, v49, 0x204
	v_cndmask_b32_e32 v48, 1.0, v50, vcc_lo
	v_cndmask_b32_e32 v97, 0, v50, vcc_lo
	v_cmp_o_f32_e32 vcc_lo, v50, v49
	v_cndmask_b32_e64 v49, v112, v114, s24
	v_bfi_b32 v47, 0x7fffffff, v47, v48
	v_cndmask_b32_e64 v48, 0x7f800000, 0, s17
	v_cmp_neq_f32_e64 s17, |v50|, 1.0
	v_cndmask_b32_e64 v48, 1.0, v48, s17
	v_cmp_class_f32_e64 s17, v50, 0x204
	v_cndmask_b32_e64 v47, v47, v48, s16
	v_cmp_eq_f32_e64 s16, 0, v50
	s_or_b32 s17, s16, s17
	s_xor_b32 s16, s18, s16
	v_cndmask_b32_e64 v48, 0x7f800000, 0, s16
	v_bfi_b32 v48, 0x7fffffff, v48, v97
	v_cndmask_b32_e64 v47, v47, v48, s17
	v_cndmask_b32_e32 v48, 0x7fc00000, v47, vcc_lo
	v_mul_f32_e32 v47, v43, v48
	v_mul_f32_e32 v48, v7, v48
	v_cndmask_b32_e64 v7, v111, v113, s24
	v_mul_f32_e32 v50, v7, v7
	v_fmaak_f32 v97, s27, v50, 0x3c0881c4
	v_fmaak_f32 v97, v50, v97, 0xbe2aaa9d
	v_mul_f32_e32 v97, v50, v97
	v_fmac_f32_e32 v7, v7, v97
	v_fmaak_f32 v97, s38, v50, 0xbab64f3b
	v_fmaak_f32 v97, v50, v97, 0x3d2aabf7
	;; [unrolled: 1-line block ×3, first 2 shown]
	v_fma_f32 v50, v50, v97, 1.0
	v_and_b32_e32 v97, 1, v49
	v_lshlrev_b32_e32 v49, 30, v49
	v_cmp_eq_u32_e32 vcc_lo, 0, v97
	v_and_b32_e32 v98, 0x80000000, v49
	v_cndmask_b32_e64 v97, -v7, v50, vcc_lo
	v_cndmask_b32_e32 v7, v50, v7, vcc_lo
	v_xor_b32_e32 v49, v98, v97
	v_xor_b32_e32 v7, v109, v7
	v_cndmask_b32_e64 v49, 0x7fc00000, v49, s25
	v_xor3_b32 v7, v7, v110, v98
	v_mul_f32_e32 v49, v102, v49
	v_cndmask_b32_e64 v7, 0x7fc00000, v7, s25
	v_mul_f32_e32 v50, v102, v7
	v_cndmask_b32_e64 v7, v93, v95, s15
	v_cndmask_b32_e64 v93, v94, v96, s15
	v_mul_f32_e32 v94, v7, v7
	v_and_b32_e32 v93, 1, v93
	v_fmaak_f32 v96, s40, v94, 0xbf039337
	v_fmaak_f32 v95, s39, v94, 0x3ec54587
	v_cmp_eq_u32_e32 vcc_lo, 0, v93
	v_fmaak_f32 v96, v94, v96, 0x3f93f425
	v_rcp_f32_e32 v96, v96
	v_mul_f32_e32 v95, v95, v96
	v_mul_f32_e32 v94, v94, v95
	v_fma_f32 v95, v94, v7, v7
	v_sub_f32_e32 v96, v95, v7
	v_fma_f32 v7, v94, v7, -v96
	v_rcp_f32_e32 v94, v95
	v_fma_f32 v96, v95, -v94, 1.0
	v_fma_f32 v7, v7, -v94, v96
	v_fma_f32 v7, v7, -v94, -v94
	v_cndmask_b32_e32 v7, v7, v95, vcc_lo
	v_xor3_b32 v7, v77, v7, v78
	v_cndmask_b32_e64 v93, 0x7fc00000, v7, s11
	v_and_b32_e32 v94, 0x7fffffff, v93
	v_cmp_gt_f32_e64 s11, 0x48000000, |v93|
	v_lshrrev_b32_e32 v7, 23, v94
	v_and_or_b32 v101, v94, s33, 0x800000
	v_add_nc_u32_e32 v7, 0xffffff88, v7
	v_cmp_lt_u32_e32 vcc_lo, 63, v7
	v_cndmask_b32_e64 v77, 0, 0xffffffc0, vcc_lo
	v_add_nc_u32_e32 v7, v77, v7
	v_cmp_lt_u32_e64 s15, 31, v7
	v_cndmask_b32_e64 v77, 0, 0xffffffe0, s15
	v_add_nc_u32_e32 v7, v77, v7
	v_cmp_lt_u32_e64 s16, 31, v7
	v_cndmask_b32_e64 v77, 0, 0xffffffe0, s16
	v_add_nc_u32_e32 v102, v77, v7
	v_mad_u64_u32 v[77:78], null, 0xfe5163ab, v101, 0
	v_cmp_eq_u32_e64 s17, 0, v102
	v_mov_b32_e32 v7, v78
	v_mad_u64_u32 v[95:96], null, 0x3c439041, v101, v[7:8]
	v_mov_b32_e32 v7, v96
	v_mad_u64_u32 v[96:97], null, 0xdb629599, v101, v[7:8]
	v_mov_b32_e32 v7, v97
	v_cndmask_b32_e32 v77, v96, v77, vcc_lo
	v_mad_u64_u32 v[97:98], null, 0xf534ddc0, v101, v[7:8]
	v_mov_b32_e32 v7, v98
	v_cndmask_b32_e32 v95, v97, v95, vcc_lo
	v_mad_u64_u32 v[98:99], null, 0xfc2757d1, v101, v[7:8]
	v_cndmask_b32_e64 v77, v95, v77, s15
	v_mov_b32_e32 v7, v99
	v_mad_u64_u32 v[99:100], null, 0x4e441529, v101, v[7:8]
	v_mov_b32_e32 v7, v100
	v_cndmask_b32_e32 v78, v99, v97, vcc_lo
	v_mad_u64_u32 v[100:101], null, 0xa2f9836e, v101, v[7:8]
	v_cndmask_b32_e32 v7, v100, v98, vcc_lo
	v_cndmask_b32_e32 v99, v101, v99, vcc_lo
	;; [unrolled: 1-line block ×3, first 2 shown]
	v_cndmask_b32_e64 v100, v7, v78, s15
	v_cndmask_b32_e64 v7, v99, v7, s15
	;; [unrolled: 1-line block ×4, first 2 shown]
	v_cmp_class_f32_e64 s15, v93, 0x1f8
	v_cndmask_b32_e64 v7, v7, v100, s16
	v_cndmask_b32_e64 v99, v100, v78, s16
	v_sub_nc_u32_e32 v100, 32, v102
	v_cndmask_b32_e64 v78, v78, v97, s16
	v_cndmask_b32_e64 v77, v97, v77, s16
	v_alignbit_b32 v101, v7, v99, v100
	v_alignbit_b32 v98, v99, v78, v100
	;; [unrolled: 1-line block ×3, first 2 shown]
	v_cndmask_b32_e64 v7, v101, v7, s17
	v_cndmask_b32_e64 v98, v98, v99, s17
	;; [unrolled: 1-line block ×3, first 2 shown]
	v_bfe_u32 v102, v7, 29, 1
	v_alignbit_b32 v99, v7, v98, 30
	v_alignbit_b32 v95, v98, v78, 30
	;; [unrolled: 1-line block ×3, first 2 shown]
	v_lshrrev_b32_e32 v101, 29, v7
	v_sub_nc_u32_e32 v103, 0, v102
	v_lshrrev_b32_e32 v7, 30, v7
	v_xor_b32_e32 v99, v99, v103
	v_xor_b32_e32 v95, v95, v103
	;; [unrolled: 1-line block ×3, first 2 shown]
	v_ffbh_u32_e32 v96, v99
	v_min_u32_e32 v96, 32, v96
	v_sub_nc_u32_e32 v97, 31, v96
	v_alignbit_b32 v98, v99, v95, v97
	v_alignbit_b32 v77, v95, v77, v97
	;; [unrolled: 1-line block ×3, first 2 shown]
	v_ffbh_u32_e32 v95, v78
	v_min_u32_e32 v95, 32, v95
	v_not_b32_e32 v97, v95
	v_add_lshl_u32 v95, v95, v96, 23
	v_lshlrev_b32_e32 v96, 23, v96
	v_alignbit_b32 v77, v78, v77, v97
	v_lshlrev_b32_e32 v78, 31, v101
	v_lshrrev_b32_e32 v77, 9, v77
	v_or_b32_e32 v97, 0x33000000, v78
	v_or_b32_e32 v78, 0.5, v78
	v_sub_nc_u32_e32 v95, v97, v95
	v_sub_nc_u32_e32 v78, v78, v96
	v_or_b32_e32 v77, v95, v77
	v_lshrrev_b32_e32 v95, 9, v98
	v_or_b32_e32 v78, v95, v78
	v_mul_f32_e32 v95, 0x3fc90fda, v78
	v_fma_f32 v96, 0x3fc90fda, v78, -v95
	v_fmac_f32_e32 v96, 0x33a22168, v78
	v_fmac_f32_e32 v96, 0x3fc90fda, v77
	v_cndmask_b32_e64 v77, v86, v90, s8
	v_add_f32_e32 v95, v95, v96
	v_add_nc_u32_e32 v96, v102, v7
	v_mul_f32_e64 v7, 0x3f22f983, |v93|
	v_and_b32_e32 v77, 1, v77
	v_rndne_f32_e32 v7, v7
	v_cmp_eq_u32_e32 vcc_lo, 0, v77
	v_fma_f32 v97, 0xbfc90fda, v7, |v93|
	v_cvt_i32_f32_e32 v98, v7
	v_fmac_f32_e32 v97, 0xb3a22168, v7
	v_fmac_f32_e32 v97, 0xa7c234c4, v7
	v_cndmask_b32_e64 v7, v85, v88, s8
	v_mul_f32_e32 v78, v7, v7
	v_fmaak_f32 v86, s40, v78, 0xbf039337
	v_fmaak_f32 v85, s39, v78, 0x3ec54587
	v_fmaak_f32 v86, v78, v86, 0x3f93f425
	v_rcp_f32_e32 v86, v86
	v_mul_f32_e32 v85, v85, v86
	v_mul_f32_e32 v78, v78, v85
	v_fma_f32 v85, v78, v7, v7
	v_sub_f32_e32 v86, v85, v7
	v_fma_f32 v7, v78, v7, -v86
	v_rcp_f32_e32 v78, v85
	v_fma_f32 v86, v85, -v78, 1.0
	v_fma_f32 v7, v7, -v78, v86
	v_fma_f32 v7, v7, -v78, -v78
	v_cndmask_b32_e32 v7, v7, v85, vcc_lo
	v_xor3_b32 v7, v51, v7, v52
	v_cndmask_b32_e64 v88, 0x7fc00000, v7, s13
	v_and_b32_e32 v90, 0x7fffffff, v88
	v_cmp_gt_f32_e64 s8, 0x48000000, |v88|
	v_lshrrev_b32_e32 v7, 23, v90
	v_and_or_b32 v103, v90, s33, 0x800000
	v_add_nc_u32_e32 v7, 0xffffff88, v7
	v_cmp_lt_u32_e32 vcc_lo, 63, v7
	v_cndmask_b32_e64 v51, 0, 0xffffffc0, vcc_lo
	v_add_nc_u32_e32 v7, v51, v7
	v_cmp_lt_u32_e64 s13, 31, v7
	v_cndmask_b32_e64 v51, 0, 0xffffffe0, s13
	v_add_nc_u32_e32 v7, v51, v7
	v_cmp_lt_u32_e64 s16, 31, v7
	v_cndmask_b32_e64 v51, 0, 0xffffffe0, s16
	v_add_nc_u32_e32 v104, v51, v7
	v_mad_u64_u32 v[51:52], null, 0xfe5163ab, v103, 0
	v_cmp_eq_u32_e64 s17, 0, v104
	v_mov_b32_e32 v7, v52
	v_mad_u64_u32 v[77:78], null, 0x3c439041, v103, v[7:8]
	v_mov_b32_e32 v7, v78
	v_mad_u64_u32 v[85:86], null, 0xdb629599, v103, v[7:8]
	v_mov_b32_e32 v7, v86
	v_cndmask_b32_e32 v51, v85, v51, vcc_lo
	v_mad_u64_u32 v[99:100], null, 0xf534ddc0, v103, v[7:8]
	v_mov_b32_e32 v7, v100
	v_cndmask_b32_e32 v77, v99, v77, vcc_lo
	v_mad_u64_u32 v[100:101], null, 0xfc2757d1, v103, v[7:8]
	v_cndmask_b32_e64 v51, v77, v51, s13
	v_mov_b32_e32 v7, v101
	v_mad_u64_u32 v[101:102], null, 0x4e441529, v103, v[7:8]
	v_mov_b32_e32 v7, v102
	v_cndmask_b32_e32 v52, v101, v99, vcc_lo
	v_mad_u64_u32 v[102:103], null, 0xa2f9836e, v103, v[7:8]
	v_cndmask_b32_e32 v7, v102, v100, vcc_lo
	v_cndmask_b32_e32 v86, v103, v101, vcc_lo
	v_cndmask_b32_e64 v78, v7, v52, s13
	v_cndmask_b32_e64 v7, v86, v7, s13
	v_cndmask_b32_e32 v86, v100, v85, vcc_lo
	v_sub_nc_u32_e32 v100, 32, v104
	v_cndmask_b32_e64 v7, v7, v78, s16
	v_cndmask_b32_e64 v52, v52, v86, s13
	;; [unrolled: 1-line block ×3, first 2 shown]
	v_cmp_class_f32_e64 s13, v88, 0x1f8
	v_cndmask_b32_e64 v78, v78, v52, s16
	v_cndmask_b32_e64 v52, v52, v86, s16
	;; [unrolled: 1-line block ×3, first 2 shown]
	v_alignbit_b32 v101, v7, v78, v100
	v_alignbit_b32 v99, v78, v52, v100
	;; [unrolled: 1-line block ×3, first 2 shown]
	v_cndmask_b32_e64 v7, v101, v7, s17
	v_cndmask_b32_e64 v78, v99, v78, s17
	;; [unrolled: 1-line block ×3, first 2 shown]
	v_bfe_u32 v102, v7, 29, 1
	v_alignbit_b32 v99, v7, v78, 30
	v_alignbit_b32 v77, v78, v52, 30
	;; [unrolled: 1-line block ×3, first 2 shown]
	v_lshrrev_b32_e32 v101, 29, v7
	v_sub_nc_u32_e32 v103, 0, v102
	v_lshrrev_b32_e32 v7, 30, v7
	v_xor_b32_e32 v99, v99, v103
	v_xor_b32_e32 v77, v77, v103
	;; [unrolled: 1-line block ×3, first 2 shown]
	v_add_nc_u32_e32 v100, v102, v7
	v_mul_f32_e64 v7, 0x3f22f983, |v88|
	v_ffbh_u32_e32 v78, v99
	v_rndne_f32_e32 v7, v7
	v_min_u32_e32 v78, 32, v78
	v_cvt_i32_f32_e32 v102, v7
	v_sub_nc_u32_e32 v85, 31, v78
	v_alignbit_b32 v86, v99, v77, v85
	v_alignbit_b32 v51, v77, v51, v85
	;; [unrolled: 1-line block ×3, first 2 shown]
	v_ffbh_u32_e32 v77, v52
	v_min_u32_e32 v77, 32, v77
	v_not_b32_e32 v85, v77
	v_add_lshl_u32 v77, v77, v78, 23
	v_lshlrev_b32_e32 v78, 23, v78
	v_alignbit_b32 v51, v52, v51, v85
	v_lshlrev_b32_e32 v52, 31, v101
	v_fma_f32 v101, 0xbfc90fda, v7, |v88|
	v_lshrrev_b32_e32 v51, 9, v51
	v_or_b32_e32 v85, 0x33000000, v52
	v_or_b32_e32 v52, 0.5, v52
	v_fmac_f32_e32 v101, 0xb3a22168, v7
	v_sub_nc_u32_e32 v77, v85, v77
	v_sub_nc_u32_e32 v52, v52, v78
	v_fmac_f32_e32 v101, 0xa7c234c4, v7
	v_cndmask_b32_e64 v7, v87, v91, s12
	v_or_b32_e32 v51, v77, v51
	v_lshrrev_b32_e32 v77, 9, v86
	v_or_b32_e32 v52, v77, v52
	v_mul_f32_e32 v77, 0x3fc90fda, v52
	v_fma_f32 v78, 0x3fc90fda, v52, -v77
	v_fmac_f32_e32 v78, 0x33a22168, v52
	v_mul_f32_e32 v52, v7, v7
	v_fmac_f32_e32 v78, 0x3fc90fda, v51
	v_cndmask_b32_e64 v51, v89, v92, s12
	v_add_f32_e32 v99, v77, v78
	v_fmaak_f32 v77, s27, v52, 0x3c0881c4
	v_fmaak_f32 v77, v52, v77, 0xbe2aaa9d
	v_mul_f32_e32 v77, v52, v77
	v_fmac_f32_e32 v7, v7, v77
	v_fmaak_f32 v77, s38, v52, 0xbab64f3b
	v_fmaak_f32 v77, v52, v77, 0x3d2aabf7
	;; [unrolled: 1-line block ×3, first 2 shown]
	v_fma_f32 v52, v52, v77, 1.0
	v_and_b32_e32 v77, 1, v51
	v_lshlrev_b32_e32 v51, 30, v51
	v_cmp_eq_u32_e32 vcc_lo, 0, v77
	v_and_b32_e32 v51, 0x80000000, v51
	v_cndmask_b32_e32 v7, v52, v7, vcc_lo
	v_xor_b32_e32 v51, v51, v79
	v_xor3_b32 v7, v51, v7, v80
	v_cndmask_b32_e64 v7, 0x7fc00000, v7, s14
	v_cmp_eq_f32_e32 vcc_lo, 1.0, v7
	v_frexp_mant_f32_e64 v51, |v7|
	v_cmp_gt_f32_e64 s14, 0, v7
	v_cndmask_b32_e64 v77, 0x40400000, 1.0, vcc_lo
	v_cmp_gt_f32_e32 vcc_lo, 0x3f2aaaab, v51
	v_cndmask_b32_e64 v52, 1.0, 2.0, vcc_lo
	v_mul_f32_e32 v51, v51, v52
	v_add_f32_e32 v78, 1.0, v51
	v_add_f32_e32 v52, -1.0, v51
	v_add_f32_e32 v79, -1.0, v78
	v_sub_f32_e32 v51, v51, v79
	v_rcp_f32_e32 v79, v78
	v_mul_f32_e32 v80, v52, v79
	v_mul_f32_e32 v85, v78, v80
	v_fma_f32 v78, v80, v78, -v85
	v_fmac_f32_e32 v78, v80, v51
	v_add_f32_e32 v51, v85, v78
	v_sub_f32_e32 v86, v52, v51
	v_sub_f32_e32 v85, v51, v85
	;; [unrolled: 1-line block ×5, first 2 shown]
	v_add_f32_e32 v51, v52, v51
	v_add_f32_e32 v51, v86, v51
	v_mul_f32_e32 v51, v79, v51
	v_add_f32_e32 v78, v80, v51
	v_sub_f32_e32 v52, v78, v80
	v_sub_f32_e32 v79, v51, v52
	v_mul_f32_e32 v51, v78, v78
	v_add_f32_e32 v80, v79, v79
	v_fma_f32 v52, v78, v78, -v51
	v_fmac_f32_e32 v52, v78, v80
	v_add_f32_e32 v80, v51, v52
	v_sub_f32_e32 v51, v80, v51
	v_fmaak_f32 v85, s19, v80, 0x3e91f4c4
	v_sub_f32_e32 v51, v52, v51
	v_mul_f32_e32 v52, v78, v80
	v_fmaak_f32 v85, v80, v85, 0x3ecccdef
	v_fma_f32 v86, v80, v78, -v52
	v_fmac_f32_e32 v86, v80, v79
	v_fmac_f32_e32 v86, v51, v78
	v_ldexp_f32 v78, v78, 1
	v_add_f32_e32 v87, v52, v86
	v_sub_f32_e32 v52, v87, v52
	v_sub_f32_e32 v52, v86, v52
	v_mul_f32_e32 v86, v80, v85
	v_fma_f32 v80, v80, v85, -v86
	v_fmac_f32_e32 v80, v51, v85
	v_add_f32_e32 v51, v86, v80
	v_add_f32_e32 v85, 0x3f2aaaaa, v51
	v_sub_f32_e32 v86, v51, v86
	v_sub_f32_e32 v80, v80, v86
	v_add_f32_e32 v86, 0xbf2aaaaa, v85
	v_add_f32_e32 v80, 0x31739010, v80
	v_sub_f32_e32 v51, v51, v86
	v_add_f32_e32 v51, v80, v51
	v_add_f32_e32 v80, v85, v51
	v_sub_f32_e32 v85, v85, v80
	v_add_f32_e32 v51, v51, v85
	v_mul_f32_e32 v85, v87, v80
	v_fma_f32 v86, v87, v80, -v85
	v_fmac_f32_e32 v86, v87, v51
	v_fmac_f32_e32 v86, v52, v80
	v_cvt_f64_f32_e64 v[51:52], |v7|
	v_frexp_exp_i32_f64_e32 v51, v[51:52]
	v_subrev_co_ci_u32_e64 v51, null, 0, v51, vcc_lo
	v_cvt_f32_i32_e32 v51, v51
	v_mul_f32_e32 v52, 0x3f317218, v51
	v_fma_f32 v80, 0x3f317218, v51, -v52
	v_fmac_f32_e32 v80, 0xb102e308, v51
	v_ldexp_f32 v51, v79, 1
	v_add_f32_e32 v79, v52, v80
	v_sub_f32_e32 v52, v79, v52
	v_sub_f32_e32 v52, v80, v52
	v_add_f32_e32 v80, v85, v86
	v_sub_f32_e32 v85, v80, v85
	v_sub_f32_e32 v85, v86, v85
	v_add_f32_e32 v86, v78, v80
	v_add_f32_e32 v51, v51, v85
	v_sub_f32_e32 v78, v86, v78
	v_sub_f32_e32 v78, v80, v78
	v_add_f32_e32 v51, v51, v78
	;; [unrolled: 4-line block ×3, first 2 shown]
	v_sub_f32_e32 v85, v80, v79
	v_sub_f32_e32 v86, v80, v85
	;; [unrolled: 1-line block ×4, first 2 shown]
	v_add_f32_e32 v78, v78, v79
	v_add_f32_e32 v79, v52, v51
	v_sub_f32_e32 v85, v79, v52
	v_sub_f32_e32 v86, v79, v85
	v_sub_f32_e32 v51, v51, v85
	v_sub_f32_e32 v52, v52, v86
	v_add_f32_e32 v51, v51, v52
	v_add_f32_e32 v52, v79, v78
	;; [unrolled: 1-line block ×3, first 2 shown]
	v_sub_f32_e32 v79, v78, v80
	v_sub_f32_e32 v52, v52, v79
	v_add_f32_e32 v51, v51, v52
	v_add_f32_e32 v52, v78, v51
	v_sub_f32_e32 v78, v52, v78
	v_sub_f32_e32 v51, v51, v78
	v_mul_f32_e32 v78, v77, v52
	v_fma_f32 v52, v77, v52, -v78
	v_cmp_class_f32_e64 vcc_lo, v78, 0x204
	v_fmac_f32_e32 v52, v77, v51
	v_add_f32_e32 v51, v78, v52
	v_sub_f32_e32 v79, v51, v78
	v_cndmask_b32_e32 v51, v51, v78, vcc_lo
	v_sub_f32_e32 v52, v52, v79
	v_cmp_neq_f32_e64 vcc_lo, 0x7f800000, |v51|
	v_cndmask_b32_e32 v52, 0, v52, vcc_lo
	v_cmp_eq_f32_e32 vcc_lo, 0x42b17218, v51
	v_cndmask_b32_e64 v78, 0, 0x37000000, vcc_lo
	v_sub_f32_e32 v51, v51, v78
	v_add_f32_e32 v52, v78, v52
	v_mul_f32_e32 v78, 0x3fb8aa3b, v51
	v_cmp_ngt_f32_e32 vcc_lo, 0xc2ce8ed0, v51
	v_fma_f32 v79, 0x3fb8aa3b, v51, -v78
	v_rndne_f32_e32 v80, v78
	v_fmac_f32_e32 v79, 0x32a5705f, v51
	v_sub_f32_e32 v78, v78, v80
	v_add_f32_e32 v78, v78, v79
	v_cvt_i32_f32_e32 v79, v80
	v_exp_f32_e32 v78, v78
	v_ldexp_f32 v78, v78, v79
	v_cndmask_b32_e32 v78, 0, v78, vcc_lo
	v_cmp_nlt_f32_e32 vcc_lo, 0x42b17218, v51
	v_cndmask_b32_e32 v51, 0x7f800000, v78, vcc_lo
	v_fma_f32 v52, v51, v52, v51
	v_cmp_class_f32_e64 vcc_lo, v51, 0x204
	v_cndmask_b32_e32 v51, v52, v51, vcc_lo
	v_trunc_f32_e32 v52, v77
	v_cmp_eq_f32_e32 vcc_lo, v52, v77
	v_mul_f32_e32 v52, 0.5, v77
	v_trunc_f32_e32 v77, v52
	v_cmp_neq_f32_e64 s12, v77, v52
	s_and_b32 s12, vcc_lo, s12
	v_cndmask_b32_e64 v52, 1.0, v7, s12
	v_cndmask_b32_e64 v77, 0, v7, s12
	v_bfi_b32 v51, 0x7fffffff, v51, v52
	v_cndmask_b32_e32 v52, 0x7fc00000, v51, vcc_lo
	v_cmp_eq_f32_e32 vcc_lo, 0, v7
	v_cndmask_b32_e64 v51, v51, v52, s14
	v_cndmask_b32_e64 v52, 0x7f800000, 0, vcc_lo
	v_cmp_class_f32_e64 s14, v7, 0x204
	v_bfi_b32 v52, 0x7fffffff, v52, v77
	v_cndmask_b32_e64 v77, v81, v83, s10
	s_or_b32 s14, vcc_lo, s14
	v_cmp_o_f32_e32 vcc_lo, v7, v7
	v_cndmask_b32_e64 v51, v51, v52, s14
	v_mul_f32_e32 v52, v77, v77
	v_cndmask_b32_e32 v80, 0x7fc00000, v51, vcc_lo
	v_fmaak_f32 v78, s27, v52, 0x3c0881c4
	v_cndmask_b32_e64 v51, v82, v84, s10
	v_fmaak_f32 v78, v52, v78, 0xbe2aaa9d
	v_mul_f32_e32 v78, v52, v78
	v_fmac_f32_e32 v77, v77, v78
	v_fmaak_f32 v78, s38, v52, 0xbab64f3b
	v_fmaak_f32 v78, v52, v78, 0x3d2aabf7
	;; [unrolled: 1-line block ×3, first 2 shown]
	v_fma_f32 v78, v52, v78, 1.0
	v_and_b32_e32 v52, 1, v51
	v_lshlrev_b32_e32 v51, 30, v51
	v_cmp_eq_u32_e64 s10, 0, v52
	v_and_b32_e32 v79, 0x80000000, v51
	v_cndmask_b32_e64 v52, v78, v77, s10
	v_xor_b32_e32 v51, v53, v52
	v_xor3_b32 v51, v51, v55, v79
	v_cndmask_b32_e64 v53, 0x7fc00000, v51, s0
	v_cmp_eq_f32_e32 vcc_lo, 1.0, v53
	v_frexp_mant_f32_e64 v51, |v53|
	v_cmp_gt_f32_e64 s14, 0, v53
	v_cndmask_b32_e64 v55, 0x40400000, 1.0, vcc_lo
	v_cmp_gt_f32_e32 vcc_lo, 0x3f2aaaab, v51
	v_cndmask_b32_e64 v52, 1.0, 2.0, vcc_lo
	v_mul_f32_e32 v51, v51, v52
	v_add_f32_e32 v81, 1.0, v51
	v_add_f32_e32 v52, -1.0, v51
	v_add_f32_e32 v82, -1.0, v81
	v_sub_f32_e32 v51, v51, v82
	v_rcp_f32_e32 v82, v81
	v_mul_f32_e32 v83, v52, v82
	v_mul_f32_e32 v84, v81, v83
	v_fma_f32 v81, v83, v81, -v84
	v_fmac_f32_e32 v81, v83, v51
	v_add_f32_e32 v51, v84, v81
	v_sub_f32_e32 v85, v52, v51
	v_sub_f32_e32 v84, v51, v84
	;; [unrolled: 1-line block ×5, first 2 shown]
	v_add_f32_e32 v51, v52, v51
	v_add_f32_e32 v51, v85, v51
	v_mul_f32_e32 v51, v82, v51
	v_add_f32_e32 v81, v83, v51
	v_sub_f32_e32 v52, v81, v83
	v_sub_f32_e32 v82, v51, v52
	v_mul_f32_e32 v51, v81, v81
	v_add_f32_e32 v83, v82, v82
	v_fma_f32 v52, v81, v81, -v51
	v_fmac_f32_e32 v52, v81, v83
	v_add_f32_e32 v83, v51, v52
	v_sub_f32_e32 v51, v83, v51
	v_fmaak_f32 v84, s19, v83, 0x3e91f4c4
	v_sub_f32_e32 v51, v52, v51
	v_mul_f32_e32 v52, v81, v83
	v_fmaak_f32 v84, v83, v84, 0x3ecccdef
	v_fma_f32 v85, v83, v81, -v52
	v_fmac_f32_e32 v85, v83, v82
	v_fmac_f32_e32 v85, v51, v81
	v_ldexp_f32 v81, v81, 1
	v_add_f32_e32 v86, v52, v85
	v_sub_f32_e32 v52, v86, v52
	v_sub_f32_e32 v52, v85, v52
	v_mul_f32_e32 v85, v83, v84
	v_fma_f32 v83, v83, v84, -v85
	v_fmac_f32_e32 v83, v51, v84
	v_add_f32_e32 v51, v85, v83
	v_add_f32_e32 v84, 0x3f2aaaaa, v51
	v_sub_f32_e32 v85, v51, v85
	v_sub_f32_e32 v83, v83, v85
	v_add_f32_e32 v85, 0xbf2aaaaa, v84
	v_add_f32_e32 v83, 0x31739010, v83
	v_sub_f32_e32 v51, v51, v85
	v_add_f32_e32 v51, v83, v51
	v_add_f32_e32 v83, v84, v51
	v_sub_f32_e32 v84, v84, v83
	v_add_f32_e32 v51, v51, v84
	v_mul_f32_e32 v84, v86, v83
	v_fma_f32 v85, v86, v83, -v84
	v_fmac_f32_e32 v85, v86, v51
	v_fmac_f32_e32 v85, v52, v83
	v_cvt_f64_f32_e64 v[51:52], |v53|
	v_frexp_exp_i32_f64_e32 v51, v[51:52]
	v_subrev_co_ci_u32_e64 v51, null, 0, v51, vcc_lo
	v_cvt_f32_i32_e32 v51, v51
	v_mul_f32_e32 v52, 0x3f317218, v51
	v_fma_f32 v83, 0x3f317218, v51, -v52
	v_fmac_f32_e32 v83, 0xb102e308, v51
	v_ldexp_f32 v51, v82, 1
	v_add_f32_e32 v82, v52, v83
	v_sub_f32_e32 v52, v82, v52
	v_sub_f32_e32 v52, v83, v52
	v_add_f32_e32 v83, v84, v85
	v_sub_f32_e32 v84, v83, v84
	v_sub_f32_e32 v84, v85, v84
	v_add_f32_e32 v85, v81, v83
	v_add_f32_e32 v51, v51, v84
	v_sub_f32_e32 v81, v85, v81
	v_sub_f32_e32 v81, v83, v81
	v_add_f32_e32 v51, v51, v81
	;; [unrolled: 4-line block ×3, first 2 shown]
	v_sub_f32_e32 v84, v83, v82
	v_sub_f32_e32 v85, v83, v84
	;; [unrolled: 1-line block ×4, first 2 shown]
	v_add_f32_e32 v81, v81, v82
	v_add_f32_e32 v82, v52, v51
	v_sub_f32_e32 v84, v82, v52
	v_sub_f32_e32 v85, v82, v84
	;; [unrolled: 1-line block ×4, first 2 shown]
	v_add_f32_e32 v51, v51, v52
	v_add_f32_e32 v52, v82, v81
	;; [unrolled: 1-line block ×3, first 2 shown]
	v_sub_f32_e32 v82, v81, v83
	v_sub_f32_e32 v52, v52, v82
	v_add_f32_e32 v51, v51, v52
	v_add_f32_e32 v52, v81, v51
	v_sub_f32_e32 v81, v52, v81
	v_sub_f32_e32 v51, v51, v81
	v_mul_f32_e32 v81, v55, v52
	v_fma_f32 v52, v55, v52, -v81
	v_cmp_class_f32_e64 vcc_lo, v81, 0x204
	v_fmac_f32_e32 v52, v55, v51
	v_add_f32_e32 v51, v81, v52
	v_sub_f32_e32 v82, v51, v81
	v_cndmask_b32_e32 v51, v51, v81, vcc_lo
	v_sub_f32_e32 v52, v52, v82
	v_cmp_neq_f32_e64 vcc_lo, 0x7f800000, |v51|
	v_cndmask_b32_e32 v52, 0, v52, vcc_lo
	v_cmp_eq_f32_e32 vcc_lo, 0x42b17218, v51
	v_cndmask_b32_e64 v81, 0, 0x37000000, vcc_lo
	v_sub_f32_e32 v51, v51, v81
	v_add_f32_e32 v52, v81, v52
	v_mul_f32_e32 v81, 0x3fb8aa3b, v51
	v_cmp_ngt_f32_e32 vcc_lo, 0xc2ce8ed0, v51
	v_fma_f32 v82, 0x3fb8aa3b, v51, -v81
	v_rndne_f32_e32 v83, v81
	v_fmac_f32_e32 v82, 0x32a5705f, v51
	v_sub_f32_e32 v81, v81, v83
	v_add_f32_e32 v81, v81, v82
	v_cvt_i32_f32_e32 v82, v83
	v_exp_f32_e32 v81, v81
	v_ldexp_f32 v81, v81, v82
	v_cndmask_b32_e32 v81, 0, v81, vcc_lo
	v_cmp_nlt_f32_e32 vcc_lo, 0x42b17218, v51
	v_cndmask_b32_e32 v51, 0x7f800000, v81, vcc_lo
	v_fma_f32 v52, v51, v52, v51
	v_cmp_class_f32_e64 vcc_lo, v51, 0x204
	v_cndmask_b32_e32 v51, v52, v51, vcc_lo
	v_trunc_f32_e32 v52, v55
	v_cmp_eq_f32_e32 vcc_lo, v52, v55
	v_mul_f32_e32 v52, 0.5, v55
	v_trunc_f32_e32 v55, v52
	v_cmp_neq_f32_e64 s12, v55, v52
	s_and_b32 s12, vcc_lo, s12
	v_cndmask_b32_e64 v52, 1.0, v53, s12
	v_cndmask_b32_e64 v55, 0, v53, s12
	v_bfi_b32 v51, 0x7fffffff, v51, v52
	v_cndmask_b32_e32 v52, 0x7fc00000, v51, vcc_lo
	v_cmp_eq_f32_e32 vcc_lo, 0, v53
	v_cndmask_b32_e64 v51, v51, v52, s14
	v_cndmask_b32_e64 v52, 0x7f800000, 0, vcc_lo
	v_cmp_class_f32_e64 s14, v53, 0x204
	v_bfi_b32 v52, 0x7fffffff, v52, v55
	v_cndmask_b32_e64 v55, v56, v58, s7
	s_or_b32 s14, vcc_lo, s14
	v_cmp_o_f32_e32 vcc_lo, v53, v53
	v_cndmask_b32_e64 v53, v57, v76, s7
	v_cndmask_b32_e64 v51, v51, v52, s14
	v_mul_f32_e32 v56, v55, v55
	v_cndmask_b32_e32 v52, 0x7fc00000, v51, vcc_lo
	v_fmaak_f32 v57, s27, v56, 0x3c0881c4
	v_add_f32_e32 v51, v80, v52
	v_fmaak_f32 v57, v56, v57, 0xbe2aaa9d
	v_sub_f32_e32 v52, v80, v52
	v_mul_f32_e32 v51, v16, v51
	v_mul_f32_e32 v57, v56, v57
	;; [unrolled: 1-line block ×3, first 2 shown]
	v_fmac_f32_e32 v55, v55, v57
	v_fmaak_f32 v57, s38, v56, 0xbab64f3b
	v_fmaak_f32 v57, v56, v57, 0x3d2aabf7
	;; [unrolled: 1-line block ×3, first 2 shown]
	v_fma_f32 v56, v56, v57, 1.0
	v_and_b32_e32 v57, 1, v53
	v_lshlrev_b32_e32 v53, 30, v53
	v_cmp_eq_u32_e32 vcc_lo, 0, v57
	v_and_b32_e32 v76, 0x80000000, v53
	v_cndmask_b32_e64 v57, -v55, v56, vcc_lo
	v_cndmask_b32_e32 v55, v56, v55, vcc_lo
	v_xor_b32_e32 v53, v76, v57
	v_xor_b32_e32 v55, v16, v55
	v_cndmask_b32_e64 v58, 0x7fc00000, v53, s9
	v_xor3_b32 v54, v55, v54, v76
	v_div_scale_f32 v55, null, v16, v16, v44
	v_mul_f32_e32 v53, v58, v44
	v_cndmask_b32_e64 v57, 0x7fc00000, v54, s9
	v_rcp_f32_e32 v56, v55
	v_sub_f32_e32 v58, v44, v58
	v_mul_f32_e32 v54, v57, v43
	v_add_f32_e32 v57, v57, v43
	v_mul_f32_e32 v58, v16, v58
	v_fma_f32 v76, -v55, v56, 1.0
	v_mul_f32_e32 v57, v16, v57
	v_fmac_f32_e32 v56, v76, v56
	v_div_scale_f32 v76, vcc_lo, v44, v16, v44
	v_mul_f32_e32 v80, v76, v56
	v_fma_f32 v81, -v55, v80, v76
	v_fmac_f32_e32 v80, v81, v56
	v_fma_f32 v55, -v55, v80, v76
	v_div_fmas_f32 v55, v55, v56, v80
	v_cmp_eq_u32_e32 vcc_lo, 0, v66
	v_mul_f32_e32 v56, v16, v43
	v_div_fixup_f32 v55, v55, v16, v44
	v_cndmask_b32_e32 v66, v65, v63, vcc_lo
	v_xor_b32_e32 v59, v59, v66
	v_xor3_b32 v59, v59, v60, v64
	v_cndmask_b32_e64 v60, -v63, v65, vcc_lo
	v_cndmask_b32_e64 v63, v68, v70, s3
	v_cndmask_b32_e64 v59, 0x7fc00000, v59, s2
	v_xor_b32_e32 v60, v64, v60
	v_mul_f32_e32 v65, v63, v63
	v_cndmask_b32_e64 v64, v69, v71, s3
	v_mul_f32_e32 v59, v32, v59
	v_cndmask_b32_e64 v60, 0x7fc00000, v60, s2
	v_fmaak_f32 v66, s27, v65, 0x3c0881c4
	v_mul_f32_e32 v60, v32, v60
	v_fmaak_f32 v66, v65, v66, 0xbe2aaa9d
	v_mul_f32_e32 v66, v65, v66
	v_fmac_f32_e32 v63, v63, v66
	v_fmaak_f32 v66, s38, v65, 0xbab64f3b
	v_fmaak_f32 v66, v65, v66, 0x3d2aabf7
	;; [unrolled: 1-line block ×3, first 2 shown]
	v_fma_f32 v65, v65, v66, 1.0
	v_and_b32_e32 v66, 1, v64
	v_lshlrev_b32_e32 v64, 30, v64
	v_cmp_eq_u32_e32 vcc_lo, 0, v66
	v_and_b32_e32 v64, 0x80000000, v64
	v_cndmask_b32_e32 v66, v65, v63, vcc_lo
	v_xor_b32_e32 v61, v61, v66
	v_xor3_b32 v61, v61, v62, v64
	v_cndmask_b32_e64 v62, -v63, v65, vcc_lo
	v_mul_f32_e32 v63, v16, v7
	v_cndmask_b32_e64 v7, -v77, v78, s10
	v_cndmask_b32_e64 v65, v73, v75, s5
	v_cndmask_b32_e64 v61, 0x7fc00000, v61, s4
	v_xor_b32_e32 v62, v64, v62
	v_xor_b32_e32 v7, v79, v7
	v_mul_f32_e32 v61, v16, v61
	v_cndmask_b32_e64 v62, 0x7fc00000, v62, s4
	v_cndmask_b32_e64 v7, 0x7fc00000, v7, s0
	v_mul_f32_e64 v62, v62, -v16
	v_mul_f32_e32 v64, v16, v7
	v_cndmask_b32_e64 v7, v72, v74, s5
	v_mul_f32_e32 v66, v7, v7
	v_fmaak_f32 v68, s27, v66, 0x3c0881c4
	v_fmaak_f32 v68, v66, v68, 0xbe2aaa9d
	v_mul_f32_e32 v68, v66, v68
	v_fmac_f32_e32 v7, v7, v68
	v_fmaak_f32 v68, s38, v66, 0xbab64f3b
	v_fmaak_f32 v68, v66, v68, 0x3d2aabf7
	;; [unrolled: 1-line block ×3, first 2 shown]
	v_fma_f32 v66, v66, v68, 1.0
	v_and_b32_e32 v68, 1, v65
	v_lshlrev_b32_e32 v65, 30, v65
	v_cmp_eq_u32_e32 vcc_lo, 0, v68
	v_and_b32_e32 v65, 0x80000000, v65
	v_cndmask_b32_e32 v68, v66, v7, vcc_lo
	v_or_b32_e32 v67, v65, v67
	v_cndmask_b32_e64 v7, -v7, v66, vcc_lo
	v_xor3_b32 v0, v67, v0, v68
	v_xor_b32_e32 v7, v65, v7
	v_cndmask_b32_e64 v0, 0x7fc00000, v0, s6
	v_cndmask_b32_e64 v7, 0x7fc00000, v7, s6
	v_mul_f32_e32 v66, v3, v0
	v_mul_f32_e32 v65, v3, v7
	v_fmac_f32_e32 v66, v15, v7
	v_add_f32_e32 v7, v14, v17
	v_fma_f32 v65, v15, v0, -v65
	v_mul_f32_e32 v0, 0x40490fdb, v2
	v_cvt_f64_f32_e64 v[68:69], |v7|
	v_bfi_b32 v67, 0x7fffffff, 0, v7
	v_mul_f32_e32 v0, v2, v0
	v_and_b32_e32 v73, 0x80000000, v7
	v_cmp_class_f32_e64 s2, v7, 0x1f8
	v_fma_f32 v75, 0.5, v0, v17
	v_cmp_eq_f32_e64 vcc_lo, |v7|, |v0|
	v_cmp_gt_f32_e64 s16, |v7|, |v0|
	v_fmac_f32_e32 v17, -0.5, v0
	v_cmp_eq_f32_e64 s1, 0, v0
	v_and_b32_e32 v76, 0x7fffffff, v75
	v_cndmask_b32_e32 v67, v7, v67, vcc_lo
	v_cmp_o_f32_e32 vcc_lo, v0, v0
	v_mul_f32_e32 v74, 0.5, v0
	v_cmp_gt_f32_e64 s9, 0x48000000, |v75|
	v_and_or_b32 v84, v76, s33, 0x800000
	v_cmp_gt_f32_e64 s10, 0x48000000, |v17|
	s_and_b32 s2, vcc_lo, s2
	v_frexp_exp_i32_f64_e32 v71, v[68:69]
	v_frexp_mant_f32_e64 v68, |v7|
	v_lshrrev_b32_e32 v7, 23, v76
	v_cvt_f64_f32_e64 v[69:70], |v0|
	v_ldexp_f32 v68, v68, 12
	v_add_nc_u32_e32 v7, 0xffffff88, v7
	v_cmp_lt_u32_e32 vcc_lo, 63, v7
	v_cndmask_b32_e64 v77, 0, 0xffffffc0, vcc_lo
	v_add_nc_u32_e32 v7, v77, v7
	v_frexp_exp_i32_f64_e32 v72, v[69:70]
	v_frexp_mant_f32_e64 v70, |v0|
	v_cmp_lt_u32_e64 s3, 31, v7
	v_ldexp_f32 v70, v70, 1
	v_cndmask_b32_e64 v77, 0, 0xffffffe0, s3
	v_add_nc_u32_e32 v7, v77, v7
	v_cmp_lt_u32_e64 s4, 31, v7
	v_cndmask_b32_e64 v77, 0, 0xffffffe0, s4
	v_add_nc_u32_e32 v69, -1, v72
	v_sub_nc_u32_e32 v71, v71, v72
	v_rcp_f32_e32 v72, v70
	v_add_nc_u32_e32 v85, v77, v7
	v_mad_u64_u32 v[77:78], null, 0xfe5163ab, v84, 0
	v_cmp_lt_i32_e64 s0, 12, v71
	v_cmp_eq_u32_e64 s5, 0, v85
	v_mov_b32_e32 v7, v78
	v_mad_u64_u32 v[78:79], null, 0x3c439041, v84, v[7:8]
	v_mov_b32_e32 v7, v79
	v_mad_u64_u32 v[79:80], null, 0xdb629599, v84, v[7:8]
	v_mov_b32_e32 v7, v80
	v_cndmask_b32_e32 v77, v79, v77, vcc_lo
	v_mad_u64_u32 v[80:81], null, 0xf534ddc0, v84, v[7:8]
	v_mov_b32_e32 v7, v81
	v_cndmask_b32_e32 v78, v80, v78, vcc_lo
	v_mad_u64_u32 v[81:82], null, 0xfc2757d1, v84, v[7:8]
	v_cndmask_b32_e64 v77, v78, v77, s3
	v_mov_b32_e32 v7, v82
	v_mad_u64_u32 v[82:83], null, 0x4e441529, v84, v[7:8]
	v_mov_b32_e32 v7, v83
	v_cndmask_b32_e32 v86, v82, v80, vcc_lo
	v_mad_u64_u32 v[83:84], null, 0xa2f9836e, v84, v[7:8]
	v_cndmask_b32_e32 v7, v83, v81, vcc_lo
	v_cndmask_b32_e32 v82, v84, v82, vcc_lo
	;; [unrolled: 1-line block ×3, first 2 shown]
	v_sub_nc_u32_e32 v84, 32, v85
	v_cndmask_b32_e64 v83, v7, v86, s3
	v_cndmask_b32_e64 v7, v82, v7, s3
	;; [unrolled: 1-line block ×4, first 2 shown]
	v_cmp_class_f32_e64 s3, v75, 0x1f8
	v_cndmask_b32_e64 v7, v7, v83, s4
	v_cndmask_b32_e64 v83, v83, v82, s4
	;; [unrolled: 1-line block ×4, first 2 shown]
	v_alignbit_b32 v85, v7, v83, v84
	v_alignbit_b32 v82, v83, v81, v84
	;; [unrolled: 1-line block ×3, first 2 shown]
	v_cndmask_b32_e64 v7, v85, v7, s5
	v_cndmask_b32_e64 v82, v82, v83, s5
	;; [unrolled: 1-line block ×3, first 2 shown]
	v_bfe_u32 v86, v7, 29, 1
	v_alignbit_b32 v83, v7, v82, 30
	v_alignbit_b32 v79, v82, v78, 30
	;; [unrolled: 1-line block ×3, first 2 shown]
	v_lshrrev_b32_e32 v85, 29, v7
	v_sub_nc_u32_e32 v87, 0, v86
	v_lshrrev_b32_e32 v7, 30, v7
	v_xor_b32_e32 v83, v83, v87
	v_xor_b32_e32 v79, v79, v87
	;; [unrolled: 1-line block ×3, first 2 shown]
	v_add_nc_u32_e32 v91, v86, v7
	v_mul_f32_e64 v7, 0x3f22f983, |v75|
	v_ffbh_u32_e32 v80, v83
	v_rndne_f32_e32 v7, v7
	v_min_u32_e32 v80, 32, v80
	v_fma_f32 v92, 0xbfc90fda, v7, |v75|
	v_sub_nc_u32_e32 v81, 31, v80
	v_cvt_i32_f32_e32 v103, v7
	v_fmac_f32_e32 v92, 0xb3a22168, v7
	v_alignbit_b32 v82, v83, v79, v81
	v_alignbit_b32 v77, v79, v77, v81
	v_fmac_f32_e32 v92, 0xa7c234c4, v7
	v_alignbit_b32 v78, v82, v77, 9
	v_ffbh_u32_e32 v79, v78
	v_min_u32_e32 v79, 32, v79
	v_not_b32_e32 v81, v79
	v_add_lshl_u32 v79, v79, v80, 23
	v_lshlrev_b32_e32 v80, 23, v80
	v_alignbit_b32 v77, v78, v77, v81
	v_lshlrev_b32_e32 v78, 31, v85
	v_lshrrev_b32_e32 v77, 9, v77
	v_or_b32_e32 v81, 0x33000000, v78
	v_or_b32_e32 v78, 0.5, v78
	v_sub_nc_u32_e32 v79, v81, v79
	v_sub_nc_u32_e32 v78, v78, v80
	v_or_b32_e32 v77, v79, v77
	v_lshrrev_b32_e32 v79, 9, v82
	v_or_b32_e32 v78, v79, v78
	v_mul_f32_e32 v79, 0x3fc90fda, v78
	v_fma_f32 v80, 0x3fc90fda, v78, -v79
	v_fmac_f32_e32 v80, 0x33a22168, v78
	v_fmac_f32_e32 v80, 0x3fc90fda, v77
	v_and_b32_e32 v77, 0x7fffffff, v17
	v_add_f32_e32 v89, v79, v80
	v_lshrrev_b32_e32 v0, 23, v77
	v_and_or_b32 v85, v77, s33, 0x800000
	v_add_nc_u32_e32 v0, 0xffffff88, v0
	v_mad_u64_u32 v[78:79], null, 0xfe5163ab, v85, 0
	v_cmp_lt_u32_e32 vcc_lo, 63, v0
	v_cndmask_b32_e64 v7, 0, 0xffffffc0, vcc_lo
	v_add_nc_u32_e32 v0, v7, v0
	v_cmp_lt_u32_e64 s4, 31, v0
	v_cndmask_b32_e64 v7, 0, 0xffffffe0, s4
	v_add_nc_u32_e32 v0, v7, v0
	v_cmp_lt_u32_e64 s5, 31, v0
	v_cndmask_b32_e64 v7, 0, 0xffffffe0, s5
	v_add_nc_u32_e32 v0, v7, v0
	v_mov_b32_e32 v7, v79
	v_cmp_eq_u32_e64 s6, 0, v0
	v_mad_u64_u32 v[79:80], null, 0x3c439041, v85, v[7:8]
	v_sub_nc_u32_e32 v0, 32, v0
	v_mov_b32_e32 v7, v80
	v_mad_u64_u32 v[80:81], null, 0xdb629599, v85, v[7:8]
	v_mov_b32_e32 v7, v81
	v_cndmask_b32_e32 v78, v80, v78, vcc_lo
	v_mad_u64_u32 v[81:82], null, 0xf534ddc0, v85, v[7:8]
	v_mov_b32_e32 v7, v82
	v_cndmask_b32_e32 v79, v81, v79, vcc_lo
	v_mad_u64_u32 v[82:83], null, 0xfc2757d1, v85, v[7:8]
	v_cndmask_b32_e64 v78, v79, v78, s4
	v_mov_b32_e32 v7, v83
	v_mad_u64_u32 v[83:84], null, 0x4e441529, v85, v[7:8]
	v_mov_b32_e32 v7, v84
	v_cndmask_b32_e32 v86, v83, v81, vcc_lo
	v_mad_u64_u32 v[84:85], null, 0xa2f9836e, v85, v[7:8]
	v_cndmask_b32_e32 v7, v84, v82, vcc_lo
	v_cndmask_b32_e32 v83, v85, v83, vcc_lo
	;; [unrolled: 1-line block ×3, first 2 shown]
	v_cndmask_b32_e64 v84, v7, v86, s4
	v_cndmask_b32_e64 v7, v83, v7, s4
	;; [unrolled: 1-line block ×4, first 2 shown]
	v_cmp_class_f32_e64 s4, v17, 0x1f8
	v_cndmask_b32_e64 v7, v7, v84, s5
	v_cndmask_b32_e64 v84, v84, v83, s5
	;; [unrolled: 1-line block ×4, first 2 shown]
	v_alignbit_b32 v85, v7, v84, v0
	v_alignbit_b32 v83, v84, v82, v0
	;; [unrolled: 1-line block ×3, first 2 shown]
	v_cndmask_b32_e64 v7, v85, v7, s6
	v_cndmask_b32_e64 v83, v83, v84, s6
	;; [unrolled: 1-line block ×3, first 2 shown]
	v_bfe_u32 v86, v7, 29, 1
	v_alignbit_b32 v84, v7, v83, 30
	v_alignbit_b32 v79, v83, v0, 30
	;; [unrolled: 1-line block ×3, first 2 shown]
	v_lshrrev_b32_e32 v85, 29, v7
	v_sub_nc_u32_e32 v87, 0, v86
	v_xor_b32_e32 v84, v84, v87
	v_xor_b32_e32 v79, v79, v87
	;; [unrolled: 1-line block ×3, first 2 shown]
	v_ffbh_u32_e32 v80, v84
	v_min_u32_e32 v80, 32, v80
	v_sub_nc_u32_e32 v81, 31, v80
	v_alignbit_b32 v82, v84, v79, v81
	v_alignbit_b32 v0, v79, v0, v81
	;; [unrolled: 1-line block ×3, first 2 shown]
	v_ffbh_u32_e32 v79, v78
	v_min_u32_e32 v79, 32, v79
	v_not_b32_e32 v81, v79
	v_add_lshl_u32 v79, v79, v80, 23
	v_lshlrev_b32_e32 v80, 23, v80
	v_alignbit_b32 v0, v78, v0, v81
	v_lshlrev_b32_e32 v78, 31, v85
	v_lshrrev_b32_e32 v0, 9, v0
	v_or_b32_e32 v81, 0x33000000, v78
	v_or_b32_e32 v78, 0.5, v78
	v_sub_nc_u32_e32 v79, v81, v79
	v_sub_nc_u32_e32 v78, v78, v80
	v_or_b32_e32 v0, v79, v0
	v_lshrrev_b32_e32 v79, 9, v82
	v_or_b32_e32 v78, v79, v78
	v_mul_f32_e32 v79, 0x3fc90fda, v78
	v_fma_f32 v80, 0x3fc90fda, v78, -v79
	v_fmac_f32_e32 v80, 0x33a22168, v78
	v_mul_f32_e32 v78, v2, v2
	v_fmac_f32_e32 v80, 0x3fc90fda, v0
	v_lshrrev_b32_e32 v0, 30, v7
	v_add_f32_e32 v7, v2, v2
	v_add_f32_e32 v104, v79, v80
	v_add_nc_u32_e32 v105, v86, v0
	v_mul_f32_e64 v0, 0x3f22f983, |v17|
	v_mul_f32_e32 v7, v2, v7
	v_rndne_f32_e32 v0, v0
	v_cmp_eq_f32_e64 s6, 0, v7
	v_fma_f32 v106, 0xbfc90fda, v0, |v17|
	v_cvt_i32_f32_e32 v107, v0
	v_fmac_f32_e32 v106, 0xb3a22168, v0
	v_fmac_f32_e32 v106, 0xa7c234c4, v0
	v_fma_f32 v0, v2, v2, v16
	v_cvt_f64_f32_e64 v[80:81], |v0|
	v_cmp_eq_f32_e64 vcc_lo, |v0|, |v7|
	v_bfi_b32 v79, 0x7fffffff, 0, v0
	v_cmp_gt_f32_e64 s17, |v0|, |v7|
	v_and_b32_e32 v85, 0x80000000, v0
	v_cmp_class_f32_e64 s7, v0, 0x1f8
	v_cndmask_b32_e32 v79, v0, v79, vcc_lo
	v_cmp_o_f32_e32 vcc_lo, v7, v7
	s_and_b32 s7, vcc_lo, s7
	v_frexp_exp_i32_f64_e32 v83, v[80:81]
	v_frexp_mant_f32_e64 v80, |v0|
	v_fma_f32 v0, -v2, v2, 1.0
	v_cvt_f64_f32_e64 v[81:82], |v7|
	v_ldexp_f32 v80, v80, 12
	v_mul_f32_e32 v86, v0, v16
	v_cndmask_b32_e64 v0, v95, v97, s11
	v_mul_f32_e32 v87, v0, v0
	v_fmaak_f32 v95, s27, v87, 0x3c0881c4
	v_fmaak_f32 v95, v87, v95, 0xbe2aaa9d
	v_frexp_exp_i32_f64_e32 v84, v[81:82]
	v_frexp_mant_f32_e64 v82, |v7|
	v_cndmask_b32_e64 v7, v96, v98, s11
	v_mul_f32_e32 v95, v87, v95
	v_ldexp_f32 v82, v82, 1
	v_fmac_f32_e32 v0, v0, v95
	v_fmaak_f32 v95, s38, v87, 0xbab64f3b
	v_fmaak_f32 v95, v87, v95, 0x3d2aabf7
	;; [unrolled: 1-line block ×3, first 2 shown]
	v_add_nc_u32_e32 v81, -1, v84
	v_sub_nc_u32_e32 v83, v83, v84
	v_fma_f32 v87, v87, v95, 1.0
	v_and_b32_e32 v95, 1, v7
	v_lshlrev_b32_e32 v7, 30, v7
	v_rcp_f32_e32 v84, v82
	v_cmp_lt_i32_e64 s5, 12, v83
	v_cmp_eq_u32_e32 vcc_lo, 0, v95
	v_and_b32_e32 v7, 0x80000000, v7
	v_cndmask_b32_e32 v0, v87, v0, vcc_lo
	v_xor_b32_e32 v7, v7, v93
	v_xor3_b32 v0, v7, v0, v94
	v_cndmask_b32_e64 v7, v100, v102, s8
	v_cndmask_b32_e64 v0, 0x7fc00000, v0, s15
	v_fma_f32 v2, v2, v0, v15
	v_cndmask_b32_e64 v0, v99, v101, s8
	v_mul_f32_e32 v87, v0, v0
	v_fmaak_f32 v93, s27, v87, 0x3c0881c4
	v_fmaak_f32 v93, v87, v93, 0xbe2aaa9d
	v_mul_f32_e32 v93, v87, v93
	v_fmac_f32_e32 v0, v0, v93
	v_fmaak_f32 v93, s38, v87, 0xbab64f3b
	v_fmaak_f32 v93, v87, v93, 0x3d2aabf7
	;; [unrolled: 1-line block ×3, first 2 shown]
	v_fma_f32 v87, v87, v93, 1.0
	v_and_b32_e32 v93, 1, v7
	v_lshlrev_b32_e32 v7, 30, v7
	v_cmp_eq_u32_e32 vcc_lo, 0, v93
	v_and_b32_e32 v7, 0x80000000, v7
	v_cndmask_b32_e32 v0, v87, v0, vcc_lo
	v_xor_b32_e32 v7, v7, v88
	v_xor3_b32 v0, v7, v0, v90
	v_cndmask_b32_e64 v0, 0x7fc00000, v0, s13
	v_fma_f32 v87, v14, v0, v3
	v_div_scale_f32 v0, null, v78, v78, v3
	v_rcp_f32_e32 v7, v0
	v_fma_f32 v88, -v0, v7, 1.0
	v_fmac_f32_e32 v7, v88, v7
	v_div_scale_f32 v88, vcc_lo, v3, v78, v3
	v_mul_f32_e32 v90, v88, v7
	v_fma_f32 v93, -v0, v90, v88
	v_fmac_f32_e32 v90, v93, v7
	v_fma_f32 v0, -v0, v90, v88
	v_div_fmas_f32 v0, v0, v7, v90
	v_div_fixup_f32 v97, v0, v78, v3
	v_and_b32_e32 v102, 0x7fffffff, v97
	v_cmp_gt_f32_e64 s11, 0x48000000, |v97|
	v_lshrrev_b32_e32 v0, 23, v102
	v_and_or_b32 v88, v102, s33, 0x800000
	v_add_nc_u32_e32 v0, 0xffffff88, v0
	v_mad_u64_u32 v[100:101], null, 0xfe5163ab, v88, 0
	v_cmp_lt_u32_e64 s13, 63, v0
	v_cndmask_b32_e64 v7, 0, 0xffffffc0, s13
	v_add_nc_u32_e32 v0, v7, v0
	v_cmp_lt_u32_e64 s12, 31, v0
	v_cndmask_b32_e64 v7, 0, 0xffffffe0, s12
	v_add_nc_u32_e32 v0, v7, v0
	v_cmp_lt_u32_e64 s8, 31, v0
	v_cndmask_b32_e64 v7, 0, 0xffffffe0, s8
	v_add_nc_u32_e32 v0, v7, v0
	v_mov_b32_e32 v7, v101
	v_cmp_eq_u32_e32 vcc_lo, 0, v0
	v_mad_u64_u32 v[94:95], null, 0x3c439041, v88, v[7:8]
	v_mov_b32_e32 v7, v95
	v_mad_u64_u32 v[108:109], null, 0xdb629599, v88, v[7:8]
	v_mov_b32_e32 v7, v109
	v_cndmask_b32_e64 v100, v108, v100, s13
	v_mad_u64_u32 v[95:96], null, 0xf534ddc0, v88, v[7:8]
	v_mov_b32_e32 v7, v96
	v_mad_u64_u32 v[98:99], null, 0xfc2757d1, v88, v[7:8]
	v_mov_b32_e32 v7, v99
	v_cndmask_b32_e64 v96, v98, v108, s13
	v_cndmask_b32_e64 v99, v95, v94, s13
	v_mad_u64_u32 v[109:110], null, 0x4e441529, v88, v[7:8]
	v_mov_b32_e32 v7, v110
	v_cndmask_b32_e64 v90, v109, v95, s13
	v_mad_u64_u32 v[110:111], null, 0xa2f9836e, v88, v[7:8]
	v_cndmask_b32_e64 v7, v110, v98, s13
	v_cndmask_b32_e64 v93, v111, v109, s13
	;; [unrolled: 1-line block ×7, first 2 shown]
	v_sub_nc_u32_e32 v93, 32, v0
	v_cmp_class_f32_e64 s12, v97, 0x1f8
	v_cndmask_b32_e64 v7, v7, v88, s8
	v_cndmask_b32_e64 v88, v88, v90, s8
	;; [unrolled: 1-line block ×4, first 2 shown]
	v_alignbit_b32 v0, v7, v88, v93
	v_cndmask_b32_e32 v0, v0, v7, vcc_lo
	v_alignbit_b32 v7, v88, v94, v93
	v_alignbit_b32 v93, v94, v98, v93
	v_cndmask_b32_e32 v95, v7, v88, vcc_lo
	v_bfe_u32 v7, v0, 29, 1
	v_cndmask_b32_e32 v93, v93, v94, vcc_lo
	v_lshrrev_b32_e32 v88, 29, v0
	v_alignbit_b32 v96, v0, v95, 30
	v_sub_nc_u32_e32 v90, 0, v7
	v_alignbit_b32 v94, v95, v93, 30
	v_alignbit_b32 v93, v93, v98, 30
	v_lshrrev_b32_e32 v0, 30, v0
	v_lshlrev_b32_e32 v88, 31, v88
	v_xor_b32_e32 v96, v96, v90
	v_xor_b32_e32 v94, v94, v90
	;; [unrolled: 1-line block ×3, first 2 shown]
	v_add_nc_u32_e32 v108, v7, v0
	v_mul_f32_e64 v0, 0x3f22f983, |v97|
	v_ffbh_u32_e32 v95, v96
	v_rndne_f32_e32 v0, v0
	v_min_u32_e32 v95, 32, v95
	v_fma_f32 v111, 0xbfc90fda, v0, |v97|
	v_sub_nc_u32_e32 v99, 31, v95
	v_cvt_i32_f32_e32 v109, v0
	v_fmac_f32_e32 v111, 0xb3a22168, v0
	v_alignbit_b32 v96, v96, v94, v99
	v_alignbit_b32 v90, v94, v90, v99
	v_fmac_f32_e32 v111, 0xa7c234c4, v0
	v_mul_f32_e32 v0, v14, v14
	v_alignbit_b32 v93, v96, v90, 9
	v_div_scale_f32 v7, null, v0, v0, v15
	v_ffbh_u32_e32 v94, v93
	v_rcp_f32_e32 v14, v7
	v_min_u32_e32 v94, 32, v94
	v_not_b32_e32 v98, v94
	v_add_lshl_u32 v94, v94, v95, 23
	v_alignbit_b32 v90, v93, v90, v98
	v_or_b32_e32 v93, 0x33000000, v88
	v_or_b32_e32 v88, 0.5, v88
	v_lshrrev_b32_e32 v90, 9, v90
	v_sub_nc_u32_e32 v93, v93, v94
	v_lshlrev_b32_e32 v94, 23, v95
	v_or_b32_e32 v90, v93, v90
	v_lshrrev_b32_e32 v93, 9, v96
	v_sub_nc_u32_e32 v88, v88, v94
	v_or_b32_e32 v88, v93, v88
	v_mul_f32_e32 v93, 0x3fc90fda, v88
	v_fma_f32 v94, 0x3fc90fda, v88, -v93
	v_fmac_f32_e32 v94, 0x33a22168, v88
	v_fma_f32 v88, -v7, v14, 1.0
	v_fmac_f32_e32 v94, 0x3fc90fda, v90
	v_fmac_f32_e32 v14, v88, v14
	v_div_scale_f32 v88, vcc_lo, v15, v0, v15
	v_add_f32_e32 v110, v93, v94
	v_mul_f32_e32 v90, v88, v14
	v_fma_f32 v93, -v7, v90, v88
	v_fmac_f32_e32 v90, v93, v14
	v_fma_f32 v7, -v7, v90, v88
	v_div_fmas_f32 v7, v7, v14, v90
	v_div_fixup_f32 v0, v7, v0, v15
	v_and_b32_e32 v98, 0x7fffffff, v0
	v_cmp_gt_f32_e64 vcc_lo, 0x48000000, |v0|
	v_lshrrev_b32_e32 v7, 23, v98
	v_and_or_b32 v88, v98, s33, 0x800000
	v_add_nc_u32_e32 v7, 0xffffff88, v7
	v_mad_u64_u32 v[93:94], null, 0xfe5163ab, v88, 0
	v_cmp_lt_u32_e64 s8, 63, v7
	v_cndmask_b32_e64 v14, 0, 0xffffffc0, s8
	v_add_nc_u32_e32 v7, v14, v7
	v_cmp_lt_u32_e64 s13, 31, v7
	v_cndmask_b32_e64 v14, 0, 0xffffffe0, s13
	v_add_nc_u32_e32 v7, v14, v7
	;; [unrolled: 3-line block ×3, first 2 shown]
	v_mov_b32_e32 v7, v94
	v_cmp_eq_u32_e64 s15, 0, v14
	v_mad_u64_u32 v[94:95], null, 0x3c439041, v88, v[7:8]
	v_sub_nc_u32_e32 v14, 32, v14
	v_mov_b32_e32 v7, v95
	v_mad_u64_u32 v[95:96], null, 0xdb629599, v88, v[7:8]
	v_mov_b32_e32 v7, v96
	v_cndmask_b32_e64 v93, v95, v93, s8
	v_mad_u64_u32 v[99:100], null, 0xf534ddc0, v88, v[7:8]
	v_mov_b32_e32 v7, v100
	v_cndmask_b32_e64 v94, v99, v94, s8
	v_mad_u64_u32 v[100:101], null, 0xfc2757d1, v88, v[7:8]
	v_cndmask_b32_e64 v93, v94, v93, s13
	v_mov_b32_e32 v7, v101
	v_mad_u64_u32 v[112:113], null, 0x4e441529, v88, v[7:8]
	v_mov_b32_e32 v7, v113
	v_cndmask_b32_e64 v90, v112, v99, s8
	v_mad_u64_u32 v[113:114], null, 0xa2f9836e, v88, v[7:8]
	v_cndmask_b32_e64 v7, v113, v100, s8
	v_cndmask_b32_e64 v96, v114, v112, s8
	;; [unrolled: 1-line block ×5, first 2 shown]
	v_cmp_class_f32_e64 s8, v0, 0x1f8
	v_cndmask_b32_e64 v7, v7, v88, s14
	v_cndmask_b32_e64 v90, v90, v96, s13
	;; [unrolled: 1-line block ×6, first 2 shown]
	v_alignbit_b32 v100, v7, v88, v14
	v_alignbit_b32 v99, v88, v90, v14
	;; [unrolled: 1-line block ×3, first 2 shown]
	v_cndmask_b32_e64 v7, v100, v7, s15
	v_cndmask_b32_e64 v88, v99, v88, s15
	;; [unrolled: 1-line block ×3, first 2 shown]
	v_bfe_u32 v101, v7, 29, 1
	v_alignbit_b32 v99, v7, v88, 30
	v_alignbit_b32 v88, v88, v14, 30
	;; [unrolled: 1-line block ×3, first 2 shown]
	v_lshrrev_b32_e32 v100, 29, v7
	v_sub_nc_u32_e32 v112, 0, v101
	v_lshrrev_b32_e32 v7, 30, v7
	v_xor_b32_e32 v99, v99, v112
	v_xor_b32_e32 v88, v88, v112
	;; [unrolled: 1-line block ×3, first 2 shown]
	v_add_nc_u32_e32 v7, v101, v7
	v_ffbh_u32_e32 v90, v99
	v_min_u32_e32 v90, 32, v90
	v_sub_nc_u32_e32 v94, 31, v90
	v_alignbit_b32 v95, v99, v88, v94
	v_alignbit_b32 v14, v88, v14, v94
	;; [unrolled: 1-line block ×3, first 2 shown]
	v_ffbh_u32_e32 v93, v88
	v_min_u32_e32 v93, 32, v93
	v_not_b32_e32 v94, v93
	v_add_lshl_u32 v93, v93, v90, 23
	v_lshlrev_b32_e32 v90, 23, v90
	v_alignbit_b32 v14, v88, v14, v94
	v_lshlrev_b32_e32 v88, 31, v100
	v_lshrrev_b32_e32 v14, 9, v14
	v_or_b32_e32 v94, 0x33000000, v88
	v_or_b32_e32 v88, 0.5, v88
	v_sub_nc_u32_e32 v93, v94, v93
	v_sub_nc_u32_e32 v88, v88, v90
	v_or_b32_e32 v14, v93, v14
	v_lshrrev_b32_e32 v93, 9, v95
	v_cndmask_b32_e64 v95, v105, v107, s10
	v_or_b32_e32 v88, v93, v88
	v_mul_f32_e32 v90, 0x3fc90fda, v88
	v_fma_f32 v93, 0x3fc90fda, v88, -v90
	v_fmac_f32_e32 v93, 0x33a22168, v88
	v_fmac_f32_e32 v93, 0x3fc90fda, v14
	v_mul_f32_e64 v14, 0x3f22f983, |v0|
	v_add_f32_e32 v99, v90, v93
	v_rndne_f32_e32 v14, v14
	v_cndmask_b32_e64 v90, v91, v103, s9
	v_cndmask_b32_e64 v103, v110, v111, s11
	v_fma_f32 v101, 0xbfc90fda, v14, |v0|
	v_cvt_i32_f32_e32 v100, v14
	v_mul_f32_e32 v105, v103, v103
	v_fmac_f32_e32 v101, 0xb3a22168, v14
	v_cndmask_b32_e32 v7, v7, v100, vcc_lo
	v_fmac_f32_e32 v101, 0xa7c234c4, v14
	v_cndmask_b32_e64 v14, v89, v92, s9
	v_cndmask_b32_e64 v92, v104, v106, s10
	v_fmaak_f32 v106, s27, v105, 0x3c0881c4
	v_cndmask_b32_e64 v104, v108, v109, s11
	v_mul_f32_e32 v88, v14, v14
	v_mul_f32_e32 v93, v92, v92
	v_fmaak_f32 v106, v105, v106, 0xbe2aaa9d
	v_fmaak_f32 v89, s27, v88, 0x3c0881c4
	;; [unrolled: 1-line block ×3, first 2 shown]
	v_mul_f32_e32 v106, v105, v106
	v_fmaak_f32 v89, v88, v89, 0xbe2aaa9d
	v_fmaak_f32 v94, v93, v94, 0xbe2aaa9d
	v_fmac_f32_e32 v103, v103, v106
	v_fmaak_f32 v106, s38, v105, 0xbab64f3b
	v_mul_f32_e32 v89, v88, v89
	v_mul_f32_e32 v94, v93, v94
	v_fmaak_f32 v106, v105, v106, 0x3d2aabf7
	v_fmac_f32_e32 v14, v14, v89
	v_fmaak_f32 v89, s38, v88, 0xbab64f3b
	v_fmac_f32_e32 v92, v92, v94
	v_fmaak_f32 v94, s38, v93, 0xbab64f3b
	v_fmaak_f32 v106, v105, v106, 0xbf000004
	;; [unrolled: 1-line block ×4, first 2 shown]
	v_fma_f32 v105, v105, v106, 1.0
	v_and_b32_e32 v106, 1, v104
	v_fmaak_f32 v89, v88, v89, 0xbf000004
	v_lshlrev_b32_e32 v104, 30, v104
	v_fmaak_f32 v94, v93, v94, 0xbf000004
	v_fma_f32 v88, v88, v89, 1.0
	v_and_b32_e32 v89, 1, v90
	v_fma_f32 v93, v93, v94, 1.0
	v_and_b32_e32 v94, 1, v95
	v_and_b32_e32 v104, 0x80000000, v104
	v_lshlrev_b32_e32 v90, 30, v90
	v_cmp_eq_u32_e64 s9, 0, v89
	v_lshlrev_b32_e32 v95, 30, v95
	v_xor_b32_e32 v97, v104, v97
	v_and_b32_e32 v90, 0x80000000, v90
	v_cndmask_b32_e64 v91, -v14, v88, s9
	v_cmp_eq_u32_e64 s9, 0, v94
	v_and_b32_e32 v95, 0x80000000, v95
	v_xor_b32_e32 v91, v90, v91
	v_cndmask_b32_e64 v96, -v92, v93, s9
	v_cmp_eq_u32_e64 s9, 0, v106
	v_cndmask_b32_e64 v91, 0x7fc00000, v91, s3
	v_xor_b32_e32 v96, v95, v96
	v_cndmask_b32_e64 v103, v105, v103, s9
	v_cndmask_b32_e64 v96, 0x7fc00000, v96, s4
	v_xor3_b32 v97, v97, v103, v102
                                        ; implicit-def: $vgpr102
	v_cndmask_b32_e64 v97, 0x7fc00000, v97, s12
	v_fma_f32 v97, v1, v97, v15
	v_cndmask_b32_e32 v1, v99, v101, vcc_lo
                                        ; implicit-def: $vgpr101
	v_mul_f32_e32 v99, v1, v1
	v_fmaak_f32 v100, s27, v99, 0x3c0881c4
	v_fmaak_f32 v100, v99, v100, 0xbe2aaa9d
	v_mul_f32_e32 v100, v99, v100
	v_fmac_f32_e32 v1, v1, v100
	v_fmaak_f32 v100, s38, v99, 0xbab64f3b
	v_fmaak_f32 v100, v99, v100, 0x3d2aabf7
	;; [unrolled: 1-line block ×3, first 2 shown]
	v_fma_f32 v99, v99, v100, 1.0
	v_and_b32_e32 v100, 1, v7
	v_lshlrev_b32_e32 v7, 30, v7
	v_cmp_eq_u32_e32 vcc_lo, 0, v100
	v_and_b32_e32 v7, 0x80000000, v7
	v_cndmask_b32_e32 v1, v99, v1, vcc_lo
	v_xor_b32_e32 v0, v7, v0
	v_xor3_b32 v0, v0, v1, v98
	v_mov_b32_e32 v98, 0
	v_cndmask_b32_e64 v0, 0x7fc00000, v0, s8
	v_fma_f32 v99, v13, v0, v3
	v_mov_b32_e32 v13, 0
	s_branch .LBB0_28
.LBB0_21:                               ;   in Loop: Header=BB0_28 Depth=1
	s_or_b32 exec_lo, exec_lo, s14
	v_mov_b32_e32 v1, v102
	v_mov_b32_e32 v7, v101
.LBB0_22:                               ;   in Loop: Header=BB0_28 Depth=1
	s_or_b32 exec_lo, exec_lo, s13
.LBB0_23:                               ;   in Loop: Header=BB0_28 Depth=1
	s_or_b32 exec_lo, exec_lo, s12
.LBB0_24:                               ;   in Loop: Header=BB0_28 Depth=1
	s_or_b32 exec_lo, exec_lo, s9
.LBB0_25:                               ;   in Loop: Header=BB0_28 Depth=1
	s_or_b32 exec_lo, exec_lo, s8
	v_mov_b32_e32 v101, v7
	v_mov_b32_e32 v102, v1
.LBB0_26:                               ;   in Loop: Header=BB0_28 Depth=1
	s_or_b32 exec_lo, exec_lo, s11
	v_fmac_f32_e32 v13, v100, v101
	v_fmac_f32_e32 v98, v100, v102
.LBB0_27:                               ;   in Loop: Header=BB0_28 Depth=1
	s_or_b32 exec_lo, exec_lo, s10
	s_add_i32 s36, s36, 1
	s_cmp_lg_u32 s36, 5
	s_cbranch_scc0 .LBB0_246
.LBB0_28:                               ; =>This Loop Header: Depth=1
                                        ;     Child Loop BB0_148 Depth 2
                                        ;     Child Loop BB0_161 Depth 2
	s_lshl_b64 s[8:9], s[36:37], 3
	s_mov_b32 s10, exec_lo
	v_add_co_u32 v0, vcc_lo, v18, s8
	v_add_co_ci_u32_e64 v1, null, s9, v19, vcc_lo
	global_load_dword v100, v[0:1], off offset:4
	s_waitcnt vmcnt(0)
	v_cmpx_ngt_f32_e64 0x3c23d70a, |v100|
	s_cbranch_execz .LBB0_27
; %bb.29:                               ;   in Loop: Header=BB0_28 Depth=1
	global_load_dword v0, v[0:1], off
	s_mov_b32 s8, exec_lo
	s_waitcnt vmcnt(0)
	v_cmpx_lt_i32_e32 17, v0
	s_xor_b32 s11, exec_lo, s8
	s_cbranch_execz .LBB0_175
; %bb.30:                               ;   in Loop: Header=BB0_28 Depth=1
	s_mov_b32 s8, exec_lo
	v_cmpx_lt_i32_e32 33, v0
	s_xor_b32 s12, exec_lo, s8
	s_cbranch_execz .LBB0_116
; %bb.31:                               ;   in Loop: Header=BB0_28 Depth=1
	s_mov_b32 s8, exec_lo
	;; [unrolled: 5-line block ×6, first 2 shown]
	v_cmpx_eq_u32_e32 48, v0
; %bb.36:                               ;   in Loop: Header=BB0_28 Depth=1
	v_mov_b32_e32 v102, v21
	v_mov_b32_e32 v101, v20
; %bb.37:                               ;   in Loop: Header=BB0_28 Depth=1
	s_or_b32 exec_lo, exec_lo, s9
.LBB0_38:                               ;   in Loop: Header=BB0_28 Depth=1
	s_andn2_saveexec_b32 s18, s8
	s_cbranch_execz .LBB0_48
; %bb.39:                               ;   in Loop: Header=BB0_28 Depth=1
	global_load_dword v0, v[9:10], off
                                        ; implicit-def: $vgpr102
                                        ; implicit-def: $vgpr101
	s_waitcnt vmcnt(0)
	v_mul_f32_e32 v0, v16, v0
	v_mul_f32_e32 v0, v100, v0
	v_and_b32_e32 v1, 0x7fffffff, v0
	v_cmp_ngt_f32_e64 s19, 0x48000000, |v0|
	v_lshrrev_b32_e32 v7, 23, v1
	v_and_or_b32 v103, v1, s33, 0x800000
	v_add_nc_u32_e32 v104, 0xffffff88, v7
	s_and_saveexec_b32 s8, s19
	s_xor_b32 s20, exec_lo, s8
	s_cbranch_execz .LBB0_41
; %bb.40:                               ;   in Loop: Header=BB0_28 Depth=1
	v_mad_u64_u32 v[101:102], null, 0xfe5163ab, v103, 0
	v_cmp_lt_u32_e32 vcc_lo, 63, v104
	v_mov_b32_e32 v7, v102
	v_cndmask_b32_e64 v102, 0, 0xffffffc0, vcc_lo
	v_mad_u64_u32 v[105:106], null, 0x3c439041, v103, v[7:8]
	v_add_nc_u32_e32 v102, v102, v104
	v_cmp_lt_u32_e64 s8, 31, v102
	v_mov_b32_e32 v7, v106
	v_cndmask_b32_e64 v111, 0, 0xffffffe0, s8
	v_mad_u64_u32 v[106:107], null, 0xdb629599, v103, v[7:8]
	v_add_nc_u32_e32 v102, v111, v102
	v_mov_b32_e32 v7, v107
	v_cmp_lt_u32_e64 s9, 31, v102
	v_cndmask_b32_e32 v101, v106, v101, vcc_lo
	v_mad_u64_u32 v[107:108], null, 0xf534ddc0, v103, v[7:8]
	v_mov_b32_e32 v7, v108
	v_mad_u64_u32 v[108:109], null, 0xfc2757d1, v103, v[7:8]
	v_mov_b32_e32 v7, v109
	;; [unrolled: 2-line block ×3, first 2 shown]
	v_cndmask_b32_e32 v112, v109, v107, vcc_lo
	v_mad_u64_u32 v[110:111], null, 0xa2f9836e, v103, v[7:8]
	v_cndmask_b32_e64 v7, 0, 0xffffffe0, s9
	v_add_nc_u32_e32 v7, v7, v102
	v_cndmask_b32_e32 v110, v110, v108, vcc_lo
	v_cndmask_b32_e32 v109, v111, v109, vcc_lo
	;; [unrolled: 1-line block ×4, first 2 shown]
	v_cmp_eq_u32_e32 vcc_lo, 0, v7
	v_cndmask_b32_e64 v105, v110, v112, s8
	v_cndmask_b32_e64 v107, v109, v110, s8
	;; [unrolled: 1-line block ×3, first 2 shown]
	v_sub_nc_u32_e32 v110, 32, v7
	v_cndmask_b32_e64 v108, v108, v102, s8
	v_cndmask_b32_e64 v101, v102, v101, s8
	;; [unrolled: 1-line block ×6, first 2 shown]
	v_alignbit_b32 v111, v107, v105, v110
	v_alignbit_b32 v106, v105, v109, v110
	;; [unrolled: 1-line block ×3, first 2 shown]
	v_cndmask_b32_e32 v7, v111, v107, vcc_lo
	v_cndmask_b32_e32 v102, v106, v105, vcc_lo
	;; [unrolled: 1-line block ×3, first 2 shown]
	v_bfe_u32 v105, v7, 29, 1
	v_alignbit_b32 v106, v7, v102, 30
	v_alignbit_b32 v102, v102, v108, 30
	;; [unrolled: 1-line block ×3, first 2 shown]
	v_sub_nc_u32_e32 v107, 0, v105
	v_xor_b32_e32 v106, v106, v107
	v_xor_b32_e32 v102, v102, v107
	;; [unrolled: 1-line block ×3, first 2 shown]
	v_lshrrev_b32_e32 v107, 29, v7
	v_lshrrev_b32_e32 v7, 30, v7
	v_ffbh_u32_e32 v109, v106
	v_min_u32_e32 v109, 32, v109
	v_sub_nc_u32_e32 v108, 31, v109
	v_lshlrev_b32_e32 v110, 23, v109
	v_alignbit_b32 v106, v106, v102, v108
	v_alignbit_b32 v101, v102, v101, v108
	v_lshlrev_b32_e32 v102, 31, v107
	v_alignbit_b32 v107, v106, v101, 9
	v_or_b32_e32 v108, 0.5, v102
	v_lshrrev_b32_e32 v106, 9, v106
	v_or_b32_e32 v102, 0x33000000, v102
	v_ffbh_u32_e32 v111, v107
	v_sub_nc_u32_e32 v108, v108, v110
	v_min_u32_e32 v110, 32, v111
	v_or_b32_e32 v106, v106, v108
	v_not_b32_e32 v108, v110
	v_mul_f32_e32 v111, 0x3fc90fda, v106
	v_add_lshl_u32 v109, v110, v109, 23
	v_alignbit_b32 v101, v107, v101, v108
	v_fma_f32 v107, 0x3fc90fda, v106, -v111
	v_sub_nc_u32_e32 v102, v102, v109
	v_lshrrev_b32_e32 v101, 9, v101
	v_fmac_f32_e32 v107, 0x33a22168, v106
	v_or_b32_e32 v101, v102, v101
	v_add_nc_u32_e32 v102, v105, v7
	v_fmac_f32_e32 v107, 0x3fc90fda, v101
	v_add_f32_e32 v101, v111, v107
.LBB0_41:                               ;   in Loop: Header=BB0_28 Depth=1
	s_or_saveexec_b32 s8, s20
	v_mul_f32_e64 v7, 0x3f22f983, |v0|
	v_rndne_f32_e32 v106, v7
	s_xor_b32 exec_lo, exec_lo, s8
; %bb.42:                               ;   in Loop: Header=BB0_28 Depth=1
	v_fma_f32 v101, 0xbfc90fda, v106, |v0|
	v_cvt_i32_f32_e32 v102, v106
	v_fmac_f32_e32 v101, 0xb3a22168, v106
	v_fmac_f32_e32 v101, 0xa7c234c4, v106
; %bb.43:                               ;   in Loop: Header=BB0_28 Depth=1
	s_or_b32 exec_lo, exec_lo, s8
                                        ; implicit-def: $vgpr105
                                        ; implicit-def: $vgpr7
	s_and_saveexec_b32 s8, s19
	s_xor_b32 s19, exec_lo, s8
	s_cbranch_execz .LBB0_45
; %bb.44:                               ;   in Loop: Header=BB0_28 Depth=1
	v_mad_u64_u32 v[105:106], null, 0xfe5163ab, v103, 0
	v_cmp_lt_u32_e32 vcc_lo, 63, v104
	v_cndmask_b32_e64 v111, 0, 0xffffffc0, vcc_lo
	v_mov_b32_e32 v7, v106
	v_add_nc_u32_e32 v104, v111, v104
	v_mad_u64_u32 v[106:107], null, 0x3c439041, v103, v[7:8]
	v_cmp_lt_u32_e64 s8, 31, v104
	v_mov_b32_e32 v7, v107
	v_cndmask_b32_e64 v112, 0, 0xffffffe0, s8
	v_mad_u64_u32 v[107:108], null, 0xdb629599, v103, v[7:8]
	v_mov_b32_e32 v7, v108
	v_cndmask_b32_e32 v105, v107, v105, vcc_lo
	v_mad_u64_u32 v[108:109], null, 0xf534ddc0, v103, v[7:8]
	v_mov_b32_e32 v7, v109
	v_cndmask_b32_e32 v106, v108, v106, vcc_lo
	v_mad_u64_u32 v[109:110], null, 0xfc2757d1, v103, v[7:8]
	v_mov_b32_e32 v7, v110
	v_mad_u64_u32 v[110:111], null, 0x4e441529, v103, v[7:8]
	v_mov_b32_e32 v7, v111
	v_add_nc_u32_e32 v111, v112, v104
	v_cndmask_b32_e32 v112, v110, v108, vcc_lo
	v_mad_u64_u32 v[103:104], null, 0xa2f9836e, v103, v[7:8]
	v_cmp_lt_u32_e64 s9, 31, v111
	v_cndmask_b32_e64 v7, 0, 0xffffffe0, s9
	v_cndmask_b32_e32 v103, v103, v109, vcc_lo
	v_cndmask_b32_e32 v104, v104, v110, vcc_lo
	;; [unrolled: 1-line block ×3, first 2 shown]
	v_add_nc_u32_e32 v7, v7, v111
	v_cndmask_b32_e64 v108, v103, v112, s8
	v_cndmask_b32_e64 v103, v104, v103, s8
	;; [unrolled: 1-line block ×4, first 2 shown]
	v_sub_nc_u32_e32 v110, 32, v7
	v_cmp_eq_u32_e32 vcc_lo, 0, v7
	v_cndmask_b32_e64 v103, v103, v108, s9
	v_cndmask_b32_e64 v108, v108, v104, s9
	;; [unrolled: 1-line block ×3, first 2 shown]
	v_alignbit_b32 v111, v103, v108, v110
	v_alignbit_b32 v107, v108, v104, v110
	v_cndmask_b32_e32 v7, v111, v103, vcc_lo
	v_cndmask_b32_e64 v103, v106, v105, s8
	v_cndmask_b32_e32 v105, v107, v108, vcc_lo
	v_bfe_u32 v106, v7, 29, 1
	v_cndmask_b32_e64 v103, v109, v103, s9
	v_alignbit_b32 v107, v7, v105, 30
	v_sub_nc_u32_e32 v108, 0, v106
	v_alignbit_b32 v109, v104, v103, v110
	v_xor_b32_e32 v107, v107, v108
	v_cndmask_b32_e32 v104, v109, v104, vcc_lo
	v_ffbh_u32_e32 v109, v107
	v_alignbit_b32 v105, v105, v104, 30
	v_alignbit_b32 v103, v104, v103, 30
	v_min_u32_e32 v109, 32, v109
	v_xor_b32_e32 v104, v105, v108
	v_xor_b32_e32 v103, v103, v108
	v_lshrrev_b32_e32 v108, 29, v7
	v_sub_nc_u32_e32 v105, 31, v109
	v_lshlrev_b32_e32 v110, 23, v109
	v_alignbit_b32 v107, v107, v104, v105
	v_alignbit_b32 v103, v104, v103, v105
	v_lshlrev_b32_e32 v104, 31, v108
	v_alignbit_b32 v105, v107, v103, 9
	v_or_b32_e32 v108, 0.5, v104
	v_lshrrev_b32_e32 v107, 9, v107
	v_or_b32_e32 v104, 0x33000000, v104
	v_ffbh_u32_e32 v111, v105
	v_sub_nc_u32_e32 v108, v108, v110
	v_min_u32_e32 v110, 32, v111
	v_or_b32_e32 v107, v107, v108
	v_not_b32_e32 v108, v110
	v_mul_f32_e32 v111, 0x3fc90fda, v107
	v_add_lshl_u32 v109, v110, v109, 23
	v_alignbit_b32 v103, v105, v103, v108
	v_fma_f32 v105, 0x3fc90fda, v107, -v111
	v_sub_nc_u32_e32 v104, v104, v109
	v_lshrrev_b32_e32 v103, 9, v103
	v_fmac_f32_e32 v105, 0x33a22168, v107
	v_or_b32_e32 v103, v104, v103
	v_fmac_f32_e32 v105, 0x3fc90fda, v103
	v_lshrrev_b32_e32 v103, 30, v7
	v_add_f32_e32 v7, v111, v105
	v_add_nc_u32_e32 v105, v106, v103
                                        ; implicit-def: $vgpr106
	s_andn2_saveexec_b32 s8, s19
	s_cbranch_execnz .LBB0_46
	s_branch .LBB0_47
.LBB0_45:                               ;   in Loop: Header=BB0_28 Depth=1
	s_andn2_saveexec_b32 s8, s19
.LBB0_46:                               ;   in Loop: Header=BB0_28 Depth=1
	v_fma_f32 v7, 0xbfc90fda, v106, |v0|
	v_cvt_i32_f32_e32 v105, v106
	v_fmac_f32_e32 v7, 0xb3a22168, v106
	v_fmac_f32_e32 v7, 0xa7c234c4, v106
.LBB0_47:                               ;   in Loop: Header=BB0_28 Depth=1
	s_or_b32 exec_lo, exec_lo, s8
	v_mul_f32_e32 v103, v0, v0
	v_mul_f32_e32 v106, v101, v101
	v_and_b32_e32 v107, 1, v102
	v_and_b32_e32 v108, 1, v105
	v_lshlrev_b32_e32 v102, 30, v102
	v_cmp_gt_f32_e32 vcc_lo, 0x800000, v103
	v_fmaak_f32 v109, s27, v106, 0x3c0881c4
	v_fmaak_f32 v110, s38, v106, 0xbab64f3b
	v_cmp_eq_u32_e64 s8, 0, v107
	v_lshlrev_b32_e32 v105, 30, v105
	v_cndmask_b32_e64 v104, 0, 32, vcc_lo
	v_fmaak_f32 v109, v106, v109, 0xbe2aaa9d
	v_fmaak_f32 v110, v106, v110, 0x3d2aabf7
	v_xor_b32_e32 v1, v1, v0
	v_and_b32_e32 v102, 0x80000000, v102
	v_ldexp_f32 v103, v103, v104
	v_mul_f32_e32 v104, v7, v7
	v_mul_f32_e32 v109, v106, v109
	v_fmaak_f32 v110, v106, v110, 0xbf000004
	v_and_b32_e32 v105, 0x80000000, v105
	v_log_f32_e32 v103, v103
	v_fmaak_f32 v111, s27, v104, 0x3c0881c4
	v_fmaak_f32 v112, s38, v104, 0xbab64f3b
	v_fmac_f32_e32 v101, v101, v109
	v_fma_f32 v106, v106, v110, 1.0
	v_fmaak_f32 v111, v104, v111, 0xbe2aaa9d
	v_fmaak_f32 v112, v104, v112, 0x3d2aabf7
	v_cndmask_b32_e64 v101, -v101, v106, s8
	v_mul_f32_e32 v113, 0x3e9a209a, v103
	v_mul_f32_e32 v111, v104, v111
	v_fmaak_f32 v112, v104, v112, 0xbf000004
	v_cmp_eq_u32_e64 s8, 0, v108
	v_xor_b32_e32 v101, v102, v101
	v_fma_f32 v113, 0x3e9a209a, v103, -v113
	v_fmac_f32_e32 v7, v7, v111
	v_fma_f32 v104, v104, v112, 1.0
	v_fmac_f32_e32 v113, 0x3284fbcf, v103
	v_cndmask_b32_e64 v7, v104, v7, s8
	v_cndmask_b32_e64 v104, 0, 0x411a209b, vcc_lo
	v_cmp_gt_f32_e64 vcc_lo, 0x7f800000, |v103|
	v_fmac_f32_e32 v113, 0x3e9a209a, v103
	v_xor3_b32 v1, v1, v105, v7
	v_cndmask_b32_e32 v102, v103, v113, vcc_lo
	v_cmp_class_f32_e64 vcc_lo, v0, 0x1f8
	v_mul_f32_e32 v1, 0x40490fdb, v1
	v_sub_f32_e32 v7, v102, v104
	v_cndmask_b32_e32 v0, 0x7fc00000, v101, vcc_lo
	v_cndmask_b32_e32 v1, 0x7fc00000, v1, vcc_lo
	v_add_f32_e32 v0, v7, v0
	v_mul_f32_e32 v101, v15, v0
	v_sub_f32_e32 v102, v0, v1
.LBB0_48:                               ;   in Loop: Header=BB0_28 Depth=1
	s_or_b32 exec_lo, exec_lo, s18
.LBB0_49:                               ;   in Loop: Header=BB0_28 Depth=1
	s_andn2_saveexec_b32 s15, s15
	s_cbranch_execz .LBB0_55
; %bb.50:                               ;   in Loop: Header=BB0_28 Depth=1
	v_mul_f32_e32 v0, v16, v100
                                        ; implicit-def: $vgpr7
                                        ; implicit-def: $vgpr1
	s_mov_b32 s9, exec_lo
	v_cmpx_ngt_f32_e64 0x48000000, |v0|
	s_xor_b32 s18, exec_lo, s9
	s_cbranch_execz .LBB0_52
; %bb.51:                               ;   in Loop: Header=BB0_28 Depth=1
	v_and_b32_e32 v1, 0x7fffffff, v0
	v_and_or_b32 v108, v1, s33, 0x800000
	v_lshrrev_b32_e32 v1, 23, v1
	v_mad_u64_u32 v[101:102], null, 0xfe5163ab, v108, 0
	v_add_nc_u32_e32 v1, 0xffffff88, v1
	v_cmp_lt_u32_e32 vcc_lo, 63, v1
	v_mov_b32_e32 v7, v102
	v_cndmask_b32_e64 v107, 0, 0xffffffc0, vcc_lo
	v_mad_u64_u32 v[102:103], null, 0x3c439041, v108, v[7:8]
	v_add_nc_u32_e32 v1, v107, v1
	v_mov_b32_e32 v7, v103
	v_cmp_lt_u32_e64 s8, 31, v1
	v_mad_u64_u32 v[103:104], null, 0xdb629599, v108, v[7:8]
	v_cndmask_b32_e64 v109, 0, 0xffffffe0, s8
	v_add_nc_u32_e32 v1, v109, v1
	v_mov_b32_e32 v7, v104
	v_cndmask_b32_e32 v101, v103, v101, vcc_lo
	v_cmp_lt_u32_e64 s9, 31, v1
	v_mad_u64_u32 v[104:105], null, 0xf534ddc0, v108, v[7:8]
	v_mov_b32_e32 v7, v105
	v_mad_u64_u32 v[105:106], null, 0xfc2757d1, v108, v[7:8]
	v_mov_b32_e32 v7, v106
	;; [unrolled: 2-line block ×3, first 2 shown]
	v_cndmask_b32_e32 v109, v106, v104, vcc_lo
	v_mad_u64_u32 v[107:108], null, 0xa2f9836e, v108, v[7:8]
	v_cndmask_b32_e64 v7, 0, 0xffffffe0, s9
	v_add_nc_u32_e32 v1, v7, v1
	v_cndmask_b32_e32 v107, v107, v105, vcc_lo
	v_cndmask_b32_e32 v106, v108, v106, vcc_lo
	;; [unrolled: 1-line block ×4, first 2 shown]
	v_cmp_eq_u32_e32 vcc_lo, 0, v1
	v_cndmask_b32_e64 v102, v107, v109, s8
	v_cndmask_b32_e64 v104, v106, v107, s8
	;; [unrolled: 1-line block ×3, first 2 shown]
	v_sub_nc_u32_e32 v107, 32, v1
	v_cndmask_b32_e64 v105, v105, v7, s8
	v_cndmask_b32_e64 v7, v7, v101, s8
	;; [unrolled: 1-line block ×6, first 2 shown]
	v_alignbit_b32 v108, v104, v102, v107
	v_alignbit_b32 v103, v102, v106, v107
	;; [unrolled: 1-line block ×3, first 2 shown]
	v_cndmask_b32_e32 v1, v108, v104, vcc_lo
	v_cndmask_b32_e32 v101, v103, v102, vcc_lo
	;; [unrolled: 1-line block ×3, first 2 shown]
	v_bfe_u32 v102, v1, 29, 1
	v_alignbit_b32 v103, v1, v101, 30
	v_alignbit_b32 v101, v101, v105, 30
	;; [unrolled: 1-line block ×3, first 2 shown]
	v_sub_nc_u32_e32 v104, 0, v102
	v_xor_b32_e32 v103, v103, v104
	v_xor_b32_e32 v101, v101, v104
	v_xor_b32_e32 v7, v7, v104
	v_lshrrev_b32_e32 v104, 29, v1
	v_ffbh_u32_e32 v106, v103
	v_min_u32_e32 v106, 32, v106
	v_sub_nc_u32_e32 v105, 31, v106
	v_lshlrev_b32_e32 v107, 23, v106
	v_alignbit_b32 v103, v103, v101, v105
	v_alignbit_b32 v7, v101, v7, v105
	v_lshlrev_b32_e32 v101, 31, v104
	v_alignbit_b32 v104, v103, v7, 9
	v_or_b32_e32 v105, 0.5, v101
	v_lshrrev_b32_e32 v103, 9, v103
	v_or_b32_e32 v101, 0x33000000, v101
	v_ffbh_u32_e32 v108, v104
	v_sub_nc_u32_e32 v105, v105, v107
	v_min_u32_e32 v107, 32, v108
	v_or_b32_e32 v103, v103, v105
	v_not_b32_e32 v105, v107
	v_mul_f32_e32 v108, 0x3fc90fda, v103
	v_add_lshl_u32 v106, v107, v106, 23
	v_alignbit_b32 v7, v104, v7, v105
	v_fma_f32 v104, 0x3fc90fda, v103, -v108
	v_sub_nc_u32_e32 v101, v101, v106
	v_lshrrev_b32_e32 v7, 9, v7
	v_fmac_f32_e32 v104, 0x33a22168, v103
	v_or_b32_e32 v7, v101, v7
	v_fmac_f32_e32 v104, 0x3fc90fda, v7
	v_lshrrev_b32_e32 v7, 30, v1
	v_add_f32_e32 v1, v108, v104
	v_add_nc_u32_e32 v7, v102, v7
.LBB0_52:                               ;   in Loop: Header=BB0_28 Depth=1
	s_andn2_saveexec_b32 s8, s18
; %bb.53:                               ;   in Loop: Header=BB0_28 Depth=1
	v_mul_f32_e64 v1, 0x3f22f983, |v0|
	v_rndne_f32_e32 v7, v1
	v_fma_f32 v1, 0xbfc90fda, v7, |v0|
	v_fmac_f32_e32 v1, 0xb3a22168, v7
	v_fmac_f32_e32 v1, 0xa7c234c4, v7
	v_cvt_i32_f32_e32 v7, v7
; %bb.54:                               ;   in Loop: Header=BB0_28 Depth=1
	s_or_b32 exec_lo, exec_lo, s8
	v_mul_f32_e32 v101, v1, v1
	v_and_b32_e32 v104, 1, v7
	v_lshlrev_b32_e32 v7, 30, v7
	v_fmaak_f32 v102, s27, v101, 0x3c0881c4
	v_fmaak_f32 v103, s38, v101, 0xbab64f3b
	v_cmp_eq_u32_e32 vcc_lo, 0, v104
	v_and_b32_e32 v7, 0x80000000, v7
	v_fmaak_f32 v102, v101, v102, 0xbe2aaa9d
	v_fmaak_f32 v103, v101, v103, 0x3d2aabf7
	v_mul_f32_e32 v102, v101, v102
	v_fmaak_f32 v103, v101, v103, 0xbf000004
	v_fmac_f32_e32 v1, v1, v102
	v_fma_f32 v101, v101, v103, 1.0
	v_cndmask_b32_e64 v1, -v1, v101, vcc_lo
	v_cmp_class_f32_e64 vcc_lo, v0, 0x1f8
	v_xor_b32_e32 v1, v7, v1
	v_cndmask_b32_e32 v0, 0x7fc00000, v1, vcc_lo
	v_mul_f32_e32 v0, v100, v0
	v_div_scale_f32 v1, null, v0, v0, 1.0
	v_div_scale_f32 v102, vcc_lo, 1.0, v0, 1.0
	v_rcp_f32_e32 v7, v1
	v_fma_f32 v101, -v1, v7, 1.0
	v_fmac_f32_e32 v7, v101, v7
	v_mul_f32_e32 v101, v102, v7
	v_fma_f32 v103, -v1, v101, v102
	v_fmac_f32_e32 v101, v103, v7
	v_fma_f32 v1, -v1, v101, v102
	v_div_fmas_f32 v1, v1, v7, v101
	v_mov_b32_e32 v101, v15
	v_div_fixup_f32 v102, v1, v0, 1.0
.LBB0_55:                               ;   in Loop: Header=BB0_28 Depth=1
	s_or_b32 exec_lo, exec_lo, s15
                                        ; implicit-def: $vgpr0
.LBB0_56:                               ;   in Loop: Header=BB0_28 Depth=1
	s_andn2_saveexec_b32 s14, s14
	s_cbranch_execz .LBB0_82
; %bb.57:                               ;   in Loop: Header=BB0_28 Depth=1
                                        ; implicit-def: $vgpr102
                                        ; implicit-def: $vgpr101
	s_mov_b32 s8, exec_lo
	v_cmpx_lt_i32_e32 44, v0
	s_xor_b32 s15, exec_lo, s8
	s_cbranch_execz .LBB0_75
; %bb.58:                               ;   in Loop: Header=BB0_28 Depth=1
	global_load_dword v0, v[9:10], off
                                        ; implicit-def: $vgpr102
                                        ; implicit-def: $vgpr101
	s_waitcnt vmcnt(0)
	v_mul_f32_e32 v0, v16, v0
	v_mul_f32_e32 v0, v100, v0
	v_and_b32_e32 v1, 0x7fffffff, v0
	v_cmp_ngt_f32_e64 s18, 0x48000000, |v0|
	v_lshrrev_b32_e32 v7, 23, v1
	v_and_or_b32 v103, v1, s33, 0x800000
	v_add_nc_u32_e32 v104, 0xffffff88, v7
	s_and_saveexec_b32 s8, s18
	s_xor_b32 s19, exec_lo, s8
	s_cbranch_execz .LBB0_60
; %bb.59:                               ;   in Loop: Header=BB0_28 Depth=1
	v_mad_u64_u32 v[101:102], null, 0xfe5163ab, v103, 0
	v_cmp_lt_u32_e32 vcc_lo, 63, v104
	v_mov_b32_e32 v7, v102
	v_cndmask_b32_e64 v102, 0, 0xffffffc0, vcc_lo
	v_mad_u64_u32 v[105:106], null, 0x3c439041, v103, v[7:8]
	v_add_nc_u32_e32 v102, v102, v104
	v_cmp_lt_u32_e64 s8, 31, v102
	v_mov_b32_e32 v7, v106
	v_cndmask_b32_e64 v111, 0, 0xffffffe0, s8
	v_mad_u64_u32 v[106:107], null, 0xdb629599, v103, v[7:8]
	v_add_nc_u32_e32 v102, v111, v102
	v_mov_b32_e32 v7, v107
	v_cmp_lt_u32_e64 s9, 31, v102
	v_cndmask_b32_e32 v101, v106, v101, vcc_lo
	v_mad_u64_u32 v[107:108], null, 0xf534ddc0, v103, v[7:8]
	v_mov_b32_e32 v7, v108
	v_mad_u64_u32 v[108:109], null, 0xfc2757d1, v103, v[7:8]
	v_mov_b32_e32 v7, v109
	;; [unrolled: 2-line block ×3, first 2 shown]
	v_cndmask_b32_e32 v112, v109, v107, vcc_lo
	v_mad_u64_u32 v[110:111], null, 0xa2f9836e, v103, v[7:8]
	v_cndmask_b32_e64 v7, 0, 0xffffffe0, s9
	v_add_nc_u32_e32 v7, v7, v102
	v_cndmask_b32_e32 v110, v110, v108, vcc_lo
	v_cndmask_b32_e32 v109, v111, v109, vcc_lo
	;; [unrolled: 1-line block ×4, first 2 shown]
	v_cmp_eq_u32_e32 vcc_lo, 0, v7
	v_cndmask_b32_e64 v105, v110, v112, s8
	v_cndmask_b32_e64 v107, v109, v110, s8
	;; [unrolled: 1-line block ×3, first 2 shown]
	v_sub_nc_u32_e32 v110, 32, v7
	v_cndmask_b32_e64 v108, v108, v102, s8
	v_cndmask_b32_e64 v101, v102, v101, s8
	;; [unrolled: 1-line block ×6, first 2 shown]
	v_alignbit_b32 v111, v107, v105, v110
	v_alignbit_b32 v106, v105, v109, v110
	v_alignbit_b32 v108, v109, v101, v110
	v_cndmask_b32_e32 v7, v111, v107, vcc_lo
	v_cndmask_b32_e32 v102, v106, v105, vcc_lo
	;; [unrolled: 1-line block ×3, first 2 shown]
	v_bfe_u32 v105, v7, 29, 1
	v_alignbit_b32 v106, v7, v102, 30
	v_alignbit_b32 v102, v102, v108, 30
	;; [unrolled: 1-line block ×3, first 2 shown]
	v_sub_nc_u32_e32 v107, 0, v105
	v_xor_b32_e32 v106, v106, v107
	v_xor_b32_e32 v102, v102, v107
	;; [unrolled: 1-line block ×3, first 2 shown]
	v_lshrrev_b32_e32 v107, 29, v7
	v_lshrrev_b32_e32 v7, 30, v7
	v_ffbh_u32_e32 v109, v106
	v_min_u32_e32 v109, 32, v109
	v_sub_nc_u32_e32 v108, 31, v109
	v_lshlrev_b32_e32 v110, 23, v109
	v_alignbit_b32 v106, v106, v102, v108
	v_alignbit_b32 v101, v102, v101, v108
	v_lshlrev_b32_e32 v102, 31, v107
	v_alignbit_b32 v107, v106, v101, 9
	v_or_b32_e32 v108, 0.5, v102
	v_lshrrev_b32_e32 v106, 9, v106
	v_or_b32_e32 v102, 0x33000000, v102
	v_ffbh_u32_e32 v111, v107
	v_sub_nc_u32_e32 v108, v108, v110
	v_min_u32_e32 v110, 32, v111
	v_or_b32_e32 v106, v106, v108
	v_not_b32_e32 v108, v110
	v_mul_f32_e32 v111, 0x3fc90fda, v106
	v_add_lshl_u32 v109, v110, v109, 23
	v_alignbit_b32 v101, v107, v101, v108
	v_fma_f32 v107, 0x3fc90fda, v106, -v111
	v_sub_nc_u32_e32 v102, v102, v109
	v_lshrrev_b32_e32 v101, 9, v101
	v_fmac_f32_e32 v107, 0x33a22168, v106
	v_or_b32_e32 v101, v102, v101
	v_add_nc_u32_e32 v102, v105, v7
	v_fmac_f32_e32 v107, 0x3fc90fda, v101
	v_add_f32_e32 v101, v111, v107
.LBB0_60:                               ;   in Loop: Header=BB0_28 Depth=1
	s_or_saveexec_b32 s8, s19
	v_mul_f32_e64 v7, 0x3f22f983, |v0|
	v_rndne_f32_e32 v107, v7
	s_xor_b32 exec_lo, exec_lo, s8
; %bb.61:                               ;   in Loop: Header=BB0_28 Depth=1
	v_fma_f32 v101, 0xbfc90fda, v107, |v0|
	v_cvt_i32_f32_e32 v102, v107
	v_fmac_f32_e32 v101, 0xb3a22168, v107
	v_fmac_f32_e32 v101, 0xa7c234c4, v107
; %bb.62:                               ;   in Loop: Header=BB0_28 Depth=1
	s_or_b32 exec_lo, exec_lo, s8
                                        ; implicit-def: $vgpr106
                                        ; implicit-def: $vgpr105
	s_and_saveexec_b32 s8, s18
	s_xor_b32 s19, exec_lo, s8
	s_cbranch_execz .LBB0_64
; %bb.63:                               ;   in Loop: Header=BB0_28 Depth=1
	v_mad_u64_u32 v[105:106], null, 0xfe5163ab, v103, 0
	v_cmp_lt_u32_e32 vcc_lo, 63, v104
	v_mov_b32_e32 v7, v106
	v_cndmask_b32_e64 v106, 0, 0xffffffc0, vcc_lo
	v_mad_u64_u32 v[108:109], null, 0x3c439041, v103, v[7:8]
	v_add_nc_u32_e32 v106, v106, v104
	v_cmp_lt_u32_e64 s8, 31, v106
	v_mov_b32_e32 v7, v109
	v_cndmask_b32_e64 v114, 0, 0xffffffe0, s8
	v_mad_u64_u32 v[109:110], null, 0xdb629599, v103, v[7:8]
	v_add_nc_u32_e32 v106, v114, v106
	v_mov_b32_e32 v7, v110
	v_cmp_lt_u32_e64 s9, 31, v106
	v_cndmask_b32_e32 v105, v109, v105, vcc_lo
	v_mad_u64_u32 v[110:111], null, 0xf534ddc0, v103, v[7:8]
	v_mov_b32_e32 v7, v111
	v_mad_u64_u32 v[111:112], null, 0xfc2757d1, v103, v[7:8]
	v_mov_b32_e32 v7, v112
	v_mad_u64_u32 v[112:113], null, 0x4e441529, v103, v[7:8]
	v_mov_b32_e32 v7, v113
	v_cndmask_b32_e32 v115, v112, v110, vcc_lo
	v_mad_u64_u32 v[113:114], null, 0xa2f9836e, v103, v[7:8]
	v_cndmask_b32_e64 v7, 0, 0xffffffe0, s9
	v_add_nc_u32_e32 v7, v7, v106
	v_cndmask_b32_e32 v113, v113, v111, vcc_lo
	v_cndmask_b32_e32 v112, v114, v112, vcc_lo
	;; [unrolled: 1-line block ×4, first 2 shown]
	v_cmp_eq_u32_e32 vcc_lo, 0, v7
	v_cndmask_b32_e64 v108, v113, v115, s8
	v_cndmask_b32_e64 v110, v112, v113, s8
	v_cndmask_b32_e64 v112, v115, v111, s8
	v_sub_nc_u32_e32 v113, 32, v7
	v_cndmask_b32_e64 v111, v111, v106, s8
	v_cndmask_b32_e64 v105, v106, v105, s8
	;; [unrolled: 1-line block ×6, first 2 shown]
	v_alignbit_b32 v114, v110, v108, v113
	v_alignbit_b32 v109, v108, v112, v113
	;; [unrolled: 1-line block ×3, first 2 shown]
	v_cndmask_b32_e32 v7, v114, v110, vcc_lo
	v_cndmask_b32_e32 v106, v109, v108, vcc_lo
	;; [unrolled: 1-line block ×3, first 2 shown]
	v_bfe_u32 v108, v7, 29, 1
	v_alignbit_b32 v109, v7, v106, 30
	v_alignbit_b32 v106, v106, v111, 30
	;; [unrolled: 1-line block ×3, first 2 shown]
	v_sub_nc_u32_e32 v110, 0, v108
	v_xor_b32_e32 v109, v109, v110
	v_xor_b32_e32 v106, v106, v110
	;; [unrolled: 1-line block ×3, first 2 shown]
	v_lshrrev_b32_e32 v110, 29, v7
	v_lshrrev_b32_e32 v7, 30, v7
	v_ffbh_u32_e32 v112, v109
	v_min_u32_e32 v112, 32, v112
	v_sub_nc_u32_e32 v111, 31, v112
	v_lshlrev_b32_e32 v113, 23, v112
	v_alignbit_b32 v109, v109, v106, v111
	v_alignbit_b32 v105, v106, v105, v111
	v_lshlrev_b32_e32 v106, 31, v110
	v_alignbit_b32 v110, v109, v105, 9
	v_or_b32_e32 v111, 0.5, v106
	v_lshrrev_b32_e32 v109, 9, v109
	v_or_b32_e32 v106, 0x33000000, v106
	v_ffbh_u32_e32 v114, v110
	v_sub_nc_u32_e32 v111, v111, v113
	v_min_u32_e32 v113, 32, v114
	v_or_b32_e32 v109, v109, v111
	v_not_b32_e32 v111, v113
	v_mul_f32_e32 v114, 0x3fc90fda, v109
	v_add_lshl_u32 v112, v113, v112, 23
	v_alignbit_b32 v105, v110, v105, v111
	v_fma_f32 v110, 0x3fc90fda, v109, -v114
	v_sub_nc_u32_e32 v106, v106, v112
	v_lshrrev_b32_e32 v105, 9, v105
	v_fmac_f32_e32 v110, 0x33a22168, v109
	v_or_b32_e32 v105, v106, v105
	v_add_nc_u32_e32 v106, v108, v7
	v_fmac_f32_e32 v110, 0x3fc90fda, v105
	v_add_f32_e32 v105, v114, v110
	s_andn2_saveexec_b32 s8, s19
	s_branch .LBB0_65
.LBB0_64:                               ;   in Loop: Header=BB0_28 Depth=1
	s_andn2_saveexec_b32 s8, s19
.LBB0_65:                               ;   in Loop: Header=BB0_28 Depth=1
	v_fma_f32 v105, 0xbfc90fda, v107, |v0|
	v_cvt_i32_f32_e32 v106, v107
	v_fmac_f32_e32 v105, 0xb3a22168, v107
	v_fmac_f32_e32 v105, 0xa7c234c4, v107
; %bb.66:                               ;   in Loop: Header=BB0_28 Depth=1
	s_or_b32 exec_lo, exec_lo, s8
                                        ; implicit-def: $vgpr109
                                        ; implicit-def: $vgpr108
	s_and_saveexec_b32 s8, s18
	s_xor_b32 s19, exec_lo, s8
	s_cbranch_execz .LBB0_68
; %bb.67:                               ;   in Loop: Header=BB0_28 Depth=1
	v_mad_u64_u32 v[108:109], null, 0xfe5163ab, v103, 0
	v_cmp_lt_u32_e32 vcc_lo, 63, v104
	v_cndmask_b32_e64 v114, 0, 0xffffffc0, vcc_lo
	v_mov_b32_e32 v7, v109
	v_add_nc_u32_e32 v115, v114, v104
	v_mad_u64_u32 v[109:110], null, 0x3c439041, v103, v[7:8]
	v_cmp_lt_u32_e64 s8, 31, v115
	v_mov_b32_e32 v7, v110
	v_cndmask_b32_e64 v116, 0, 0xffffffe0, s8
	v_mad_u64_u32 v[110:111], null, 0xdb629599, v103, v[7:8]
	v_add_nc_u32_e32 v116, v116, v115
	v_cmp_lt_u32_e64 s9, 31, v116
	v_mov_b32_e32 v7, v111
	v_cndmask_b32_e32 v108, v110, v108, vcc_lo
	v_mad_u64_u32 v[111:112], null, 0xf534ddc0, v103, v[7:8]
	v_mov_b32_e32 v7, v112
	v_cndmask_b32_e32 v109, v111, v109, vcc_lo
	v_mad_u64_u32 v[112:113], null, 0xfc2757d1, v103, v[7:8]
	v_cndmask_b32_e64 v108, v109, v108, s8
	v_mov_b32_e32 v7, v113
	v_mad_u64_u32 v[113:114], null, 0x4e441529, v103, v[7:8]
	v_mov_b32_e32 v7, v114
	v_cndmask_b32_e32 v117, v113, v111, vcc_lo
	v_mad_u64_u32 v[114:115], null, 0xa2f9836e, v103, v[7:8]
	v_cndmask_b32_e64 v7, 0, 0xffffffe0, s9
	v_add_nc_u32_e32 v7, v7, v116
	v_cndmask_b32_e32 v114, v114, v112, vcc_lo
	v_cndmask_b32_e32 v113, v115, v113, vcc_lo
	;; [unrolled: 1-line block ×3, first 2 shown]
	v_sub_nc_u32_e32 v115, 32, v7
	v_cndmask_b32_e64 v111, v114, v117, s8
	v_cndmask_b32_e64 v113, v113, v114, s8
	;; [unrolled: 1-line block ×4, first 2 shown]
	v_cmp_eq_u32_e32 vcc_lo, 0, v7
	v_cndmask_b32_e64 v113, v113, v111, s9
	v_cndmask_b32_e64 v111, v111, v114, s9
	v_cndmask_b32_e64 v114, v114, v112, s9
	v_cndmask_b32_e64 v108, v112, v108, s9
	v_alignbit_b32 v116, v113, v111, v115
	v_alignbit_b32 v110, v111, v114, v115
	v_cndmask_b32_e32 v7, v116, v113, vcc_lo
	v_cndmask_b32_e32 v109, v110, v111, vcc_lo
	v_alignbit_b32 v113, v114, v108, v115
	v_bfe_u32 v110, v7, 29, 1
	v_alignbit_b32 v111, v7, v109, 30
	v_cndmask_b32_e32 v113, v113, v114, vcc_lo
	v_sub_nc_u32_e32 v112, 0, v110
	v_alignbit_b32 v109, v109, v113, 30
	v_alignbit_b32 v108, v113, v108, 30
	v_xor_b32_e32 v111, v111, v112
	v_xor_b32_e32 v109, v109, v112
	;; [unrolled: 1-line block ×3, first 2 shown]
	v_lshrrev_b32_e32 v112, 29, v7
	v_ffbh_u32_e32 v114, v111
	v_lshrrev_b32_e32 v7, 30, v7
	v_min_u32_e32 v114, 32, v114
	v_sub_nc_u32_e32 v113, 31, v114
	v_lshlrev_b32_e32 v115, 23, v114
	v_alignbit_b32 v111, v111, v109, v113
	v_alignbit_b32 v108, v109, v108, v113
	v_lshlrev_b32_e32 v109, 31, v112
	v_alignbit_b32 v112, v111, v108, 9
	v_or_b32_e32 v113, 0.5, v109
	v_lshrrev_b32_e32 v111, 9, v111
	v_or_b32_e32 v109, 0x33000000, v109
	v_ffbh_u32_e32 v116, v112
	v_sub_nc_u32_e32 v113, v113, v115
	v_min_u32_e32 v115, 32, v116
	v_or_b32_e32 v111, v111, v113
	v_not_b32_e32 v113, v115
	v_mul_f32_e32 v116, 0x3fc90fda, v111
	v_add_lshl_u32 v114, v115, v114, 23
	v_alignbit_b32 v108, v112, v108, v113
	v_fma_f32 v112, 0x3fc90fda, v111, -v116
	v_sub_nc_u32_e32 v109, v109, v114
	v_lshrrev_b32_e32 v108, 9, v108
	v_fmac_f32_e32 v112, 0x33a22168, v111
	v_or_b32_e32 v108, v109, v108
	v_add_nc_u32_e32 v109, v110, v7
	v_fmac_f32_e32 v112, 0x3fc90fda, v108
	v_add_f32_e32 v108, v116, v112
	s_andn2_saveexec_b32 s8, s19
	s_branch .LBB0_69
.LBB0_68:                               ;   in Loop: Header=BB0_28 Depth=1
	s_andn2_saveexec_b32 s8, s19
.LBB0_69:                               ;   in Loop: Header=BB0_28 Depth=1
	v_fma_f32 v108, 0xbfc90fda, v107, |v0|
	v_cvt_i32_f32_e32 v109, v107
	v_fmac_f32_e32 v108, 0xb3a22168, v107
	v_fmac_f32_e32 v108, 0xa7c234c4, v107
; %bb.70:                               ;   in Loop: Header=BB0_28 Depth=1
	s_or_b32 exec_lo, exec_lo, s8
                                        ; implicit-def: $vgpr110
                                        ; implicit-def: $vgpr7
	s_and_saveexec_b32 s8, s18
	s_xor_b32 s18, exec_lo, s8
	s_cbranch_execz .LBB0_72
; %bb.71:                               ;   in Loop: Header=BB0_28 Depth=1
	v_mad_u64_u32 v[110:111], null, 0xfe5163ab, v103, 0
	v_cmp_lt_u32_e32 vcc_lo, 63, v104
	v_cndmask_b32_e64 v107, 0, 0xffffffc0, vcc_lo
	v_mov_b32_e32 v7, v111
	v_add_nc_u32_e32 v104, v107, v104
	v_mad_u64_u32 v[111:112], null, 0x3c439041, v103, v[7:8]
	v_cmp_lt_u32_e64 s8, 31, v104
	v_mov_b32_e32 v7, v112
	v_cndmask_b32_e64 v107, 0, 0xffffffe0, s8
	v_mad_u64_u32 v[112:113], null, 0xdb629599, v103, v[7:8]
	v_add_nc_u32_e32 v107, v107, v104
	v_cmp_lt_u32_e64 s9, 31, v107
	v_mov_b32_e32 v7, v113
	v_cndmask_b32_e32 v110, v112, v110, vcc_lo
	v_mad_u64_u32 v[113:114], null, 0xf534ddc0, v103, v[7:8]
	v_mov_b32_e32 v7, v114
	v_mad_u64_u32 v[114:115], null, 0xfc2757d1, v103, v[7:8]
	v_mov_b32_e32 v7, v115
	;; [unrolled: 2-line block ×3, first 2 shown]
	v_cndmask_b32_e32 v116, v115, v113, vcc_lo
	v_mad_u64_u32 v[103:104], null, 0xa2f9836e, v103, v[7:8]
	v_cndmask_b32_e64 v7, 0, 0xffffffe0, s9
	v_add_nc_u32_e32 v7, v7, v107
	v_cndmask_b32_e32 v103, v103, v114, vcc_lo
	v_cndmask_b32_e32 v104, v104, v115, vcc_lo
	;; [unrolled: 1-line block ×4, first 2 shown]
	v_sub_nc_u32_e32 v113, 32, v7
	v_cndmask_b32_e64 v111, v103, v116, s8
	v_cndmask_b32_e64 v103, v104, v103, s8
	;; [unrolled: 1-line block ×4, first 2 shown]
	v_cmp_eq_u32_e32 vcc_lo, 0, v7
	v_cndmask_b32_e64 v103, v103, v111, s9
	v_cndmask_b32_e64 v111, v111, v104, s9
	;; [unrolled: 1-line block ×3, first 2 shown]
	v_alignbit_b32 v115, v103, v111, v113
	v_alignbit_b32 v112, v111, v104, v113
	v_cndmask_b32_e32 v7, v115, v103, vcc_lo
	v_cndmask_b32_e64 v103, v107, v110, s8
	v_cndmask_b32_e32 v107, v112, v111, vcc_lo
	v_bfe_u32 v110, v7, 29, 1
	v_cndmask_b32_e64 v103, v114, v103, s9
	v_alignbit_b32 v111, v7, v107, 30
	v_sub_nc_u32_e32 v112, 0, v110
	v_alignbit_b32 v113, v104, v103, v113
	v_xor_b32_e32 v111, v111, v112
	v_cndmask_b32_e32 v104, v113, v104, vcc_lo
	v_ffbh_u32_e32 v113, v111
	v_alignbit_b32 v107, v107, v104, 30
	v_alignbit_b32 v103, v104, v103, 30
	v_min_u32_e32 v113, 32, v113
	v_xor_b32_e32 v104, v107, v112
	v_xor_b32_e32 v103, v103, v112
	v_lshrrev_b32_e32 v112, 29, v7
	v_sub_nc_u32_e32 v107, 31, v113
	v_lshlrev_b32_e32 v114, 23, v113
	v_alignbit_b32 v111, v111, v104, v107
	v_alignbit_b32 v103, v104, v103, v107
	v_lshlrev_b32_e32 v104, 31, v112
	v_alignbit_b32 v107, v111, v103, 9
	v_or_b32_e32 v112, 0.5, v104
	v_lshrrev_b32_e32 v111, 9, v111
	v_or_b32_e32 v104, 0x33000000, v104
	v_ffbh_u32_e32 v115, v107
	v_sub_nc_u32_e32 v112, v112, v114
	v_min_u32_e32 v114, 32, v115
	v_or_b32_e32 v111, v111, v112
	v_not_b32_e32 v112, v114
	v_mul_f32_e32 v115, 0x3fc90fda, v111
	v_add_lshl_u32 v113, v114, v113, 23
	v_alignbit_b32 v103, v107, v103, v112
	v_fma_f32 v107, 0x3fc90fda, v111, -v115
	v_sub_nc_u32_e32 v104, v104, v113
	v_lshrrev_b32_e32 v103, 9, v103
	v_fmac_f32_e32 v107, 0x33a22168, v111
	v_or_b32_e32 v103, v104, v103
	v_fmac_f32_e32 v107, 0x3fc90fda, v103
	v_lshrrev_b32_e32 v103, 30, v7
	v_add_f32_e32 v7, v115, v107
	v_add_nc_u32_e32 v110, v110, v103
                                        ; implicit-def: $vgpr107
	s_andn2_saveexec_b32 s8, s18
	s_cbranch_execnz .LBB0_73
	s_branch .LBB0_74
.LBB0_72:                               ;   in Loop: Header=BB0_28 Depth=1
	s_andn2_saveexec_b32 s8, s18
.LBB0_73:                               ;   in Loop: Header=BB0_28 Depth=1
	v_fma_f32 v7, 0xbfc90fda, v107, |v0|
	v_cvt_i32_f32_e32 v110, v107
	v_fmac_f32_e32 v7, 0xb3a22168, v107
	v_fmac_f32_e32 v7, 0xa7c234c4, v107
.LBB0_74:                               ;   in Loop: Header=BB0_28 Depth=1
	s_or_b32 exec_lo, exec_lo, s8
	v_mul_f32_e32 v103, v108, v108
	v_mul_f32_e32 v107, v101, v101
	v_and_b32_e32 v104, 1, v109
	v_and_b32_e32 v113, 1, v102
	v_mul_f32_e32 v116, v105, v105
	v_fmaak_f32 v111, s27, v103, 0x3c0881c4
	v_fmaak_f32 v112, s38, v103, 0xbab64f3b
	;; [unrolled: 1-line block ×4, first 2 shown]
	v_cmp_eq_u32_e32 vcc_lo, 0, v104
	v_fmaak_f32 v111, v103, v111, 0xbe2aaa9d
	v_fmaak_f32 v112, v103, v112, 0x3d2aabf7
	;; [unrolled: 1-line block ×5, first 2 shown]
	v_mul_f32_e32 v111, v103, v111
	v_fmaak_f32 v112, v103, v112, 0xbf000004
	v_mul_f32_e32 v114, v107, v114
	v_fmaak_f32 v115, v107, v115, 0xbf000004
	v_fmaak_f32 v104, v116, v104, 0x3d2aabf7
	v_fmac_f32_e32 v108, v108, v111
	v_fma_f32 v103, v103, v112, 1.0
	v_fmaak_f32 v111, s27, v116, 0x3c0881c4
	v_fmac_f32_e32 v101, v101, v114
	v_fma_f32 v107, v107, v115, 1.0
	v_fmaak_f32 v104, v116, v104, 0xbf000004
	v_cndmask_b32_e64 v103, -v108, v103, vcc_lo
	v_cmp_eq_u32_e32 vcc_lo, 0, v113
	v_mul_f32_e32 v108, v7, v7
	v_lshlrev_b32_e32 v113, 30, v110
	v_fma_f32 v104, v116, v104, 1.0
	v_and_b32_e32 v110, 1, v110
	v_cndmask_b32_e64 v101, -v101, v107, vcc_lo
	v_fmaak_f32 v107, v116, v111, 0xbe2aaa9d
	v_fmaak_f32 v111, s27, v108, 0x3c0881c4
	;; [unrolled: 1-line block ×3, first 2 shown]
	v_lshlrev_b32_e32 v109, 30, v109
	v_lshlrev_b32_e32 v102, 30, v102
	v_mul_f32_e32 v107, v116, v107
	v_fmaak_f32 v111, v108, v111, 0xbe2aaa9d
	v_fmaak_f32 v112, v108, v112, 0x3d2aabf7
	v_and_b32_e32 v109, 0x80000000, v109
	v_and_b32_e32 v102, 0x80000000, v102
	v_fmac_f32_e32 v105, v105, v107
	v_lshlrev_b32_e32 v107, 30, v106
	v_and_b32_e32 v106, 1, v106
	v_mul_f32_e32 v111, v108, v111
	v_fmaak_f32 v112, v108, v112, 0xbf000004
	v_xor_b32_e32 v103, v109, v103
	v_and_b32_e32 v107, 0x80000000, v107
	v_cmp_eq_u32_e32 vcc_lo, 0, v106
	v_fmac_f32_e32 v7, v7, v111
	v_fma_f32 v108, v108, v112, 1.0
	v_and_b32_e32 v111, 0x80000000, v113
	v_xor_b32_e32 v101, v102, v101
	v_cndmask_b32_e32 v104, v104, v105, vcc_lo
	v_cmp_eq_u32_e32 vcc_lo, 0, v110
	v_xor_b32_e32 v105, v1, v107
	v_xor_b32_e32 v1, v1, v111
	v_cndmask_b32_e32 v7, v108, v7, vcc_lo
	v_xor3_b32 v102, v105, v104, v0
	v_cmp_class_f32_e64 vcc_lo, v0, 0x1f8
	v_xor3_b32 v1, v1, v7, v0
	v_add_f32_e32 v7, v101, v102
	v_sub_f32_e32 v1, v103, v1
	v_cndmask_b32_e32 v0, 0x7fc00000, v7, vcc_lo
	v_cndmask_b32_e32 v1, 0x7fc00000, v1, vcc_lo
	v_mul_f32_e32 v101, v15, v0
	v_mul_f32_e32 v102, v15, v1
.LBB0_75:                               ;   in Loop: Header=BB0_28 Depth=1
	s_andn2_saveexec_b32 s15, s15
	s_cbranch_execz .LBB0_81
; %bb.76:                               ;   in Loop: Header=BB0_28 Depth=1
	global_load_dword v0, v[9:10], off
                                        ; implicit-def: $vgpr101
                                        ; implicit-def: $vgpr7
	s_mov_b32 s9, exec_lo
	s_waitcnt vmcnt(0)
	v_mul_f32_e32 v0, 0x40490fdb, v0
	v_mul_f32_e32 v0, v100, v0
	v_and_b32_e32 v1, 0x7fffffff, v0
	v_cmpx_ngt_f32_e64 0x48000000, |v0|
	s_xor_b32 s18, exec_lo, s9
	s_cbranch_execz .LBB0_78
; %bb.77:                               ;   in Loop: Header=BB0_28 Depth=1
	v_and_or_b32 v108, v1, s33, 0x800000
	v_lshrrev_b32_e32 v106, 23, v1
	v_mad_u64_u32 v[101:102], null, 0xfe5163ab, v108, 0
	v_add_nc_u32_e32 v107, 0xffffff88, v106
	v_cmp_lt_u32_e32 vcc_lo, 63, v107
	v_mov_b32_e32 v7, v102
	v_cndmask_b32_e64 v109, 0, 0xffffffc0, vcc_lo
	v_mad_u64_u32 v[102:103], null, 0x3c439041, v108, v[7:8]
	v_add_nc_u32_e32 v109, v109, v107
	v_mov_b32_e32 v7, v103
	v_cmp_lt_u32_e64 s8, 31, v109
	v_mad_u64_u32 v[103:104], null, 0xdb629599, v108, v[7:8]
	v_cndmask_b32_e64 v110, 0, 0xffffffe0, s8
	v_add_nc_u32_e32 v109, v110, v109
	v_mov_b32_e32 v7, v104
	v_cndmask_b32_e32 v101, v103, v101, vcc_lo
	v_cmp_lt_u32_e64 s9, 31, v109
	v_mad_u64_u32 v[104:105], null, 0xf534ddc0, v108, v[7:8]
	v_mov_b32_e32 v7, v105
	v_cndmask_b32_e32 v102, v104, v102, vcc_lo
	v_mad_u64_u32 v[105:106], null, 0xfc2757d1, v108, v[7:8]
	v_cndmask_b32_e64 v101, v102, v101, s8
	v_mov_b32_e32 v7, v106
	v_mad_u64_u32 v[106:107], null, 0x4e441529, v108, v[7:8]
	v_mov_b32_e32 v7, v107
	v_cndmask_b32_e32 v110, v106, v104, vcc_lo
	v_mad_u64_u32 v[107:108], null, 0xa2f9836e, v108, v[7:8]
	v_cndmask_b32_e64 v7, 0, 0xffffffe0, s9
	v_add_nc_u32_e32 v7, v7, v109
	v_cndmask_b32_e32 v107, v107, v105, vcc_lo
	v_cndmask_b32_e32 v106, v108, v106, vcc_lo
	v_cndmask_b32_e32 v105, v105, v103, vcc_lo
	v_sub_nc_u32_e32 v108, 32, v7
	v_cndmask_b32_e64 v104, v107, v110, s8
	v_cndmask_b32_e64 v106, v106, v107, s8
	;; [unrolled: 1-line block ×4, first 2 shown]
	v_cmp_eq_u32_e32 vcc_lo, 0, v7
	v_cndmask_b32_e64 v106, v106, v104, s9
	v_cndmask_b32_e64 v104, v104, v107, s9
	;; [unrolled: 1-line block ×4, first 2 shown]
	v_alignbit_b32 v109, v106, v104, v108
	v_alignbit_b32 v103, v104, v107, v108
	v_cndmask_b32_e32 v7, v109, v106, vcc_lo
	v_cndmask_b32_e32 v102, v103, v104, vcc_lo
	v_alignbit_b32 v106, v107, v101, v108
	v_bfe_u32 v103, v7, 29, 1
	v_alignbit_b32 v104, v7, v102, 30
	v_cndmask_b32_e32 v106, v106, v107, vcc_lo
	v_sub_nc_u32_e32 v105, 0, v103
	v_alignbit_b32 v102, v102, v106, 30
	v_alignbit_b32 v101, v106, v101, 30
	v_xor_b32_e32 v104, v104, v105
	v_xor_b32_e32 v102, v102, v105
	;; [unrolled: 1-line block ×3, first 2 shown]
	v_lshrrev_b32_e32 v105, 29, v7
	v_ffbh_u32_e32 v107, v104
	v_min_u32_e32 v107, 32, v107
	v_sub_nc_u32_e32 v106, 31, v107
	v_lshlrev_b32_e32 v108, 23, v107
	v_alignbit_b32 v104, v104, v102, v106
	v_alignbit_b32 v101, v102, v101, v106
	v_lshlrev_b32_e32 v102, 31, v105
	v_alignbit_b32 v105, v104, v101, 9
	v_or_b32_e32 v106, 0.5, v102
	v_lshrrev_b32_e32 v104, 9, v104
	v_or_b32_e32 v102, 0x33000000, v102
	v_ffbh_u32_e32 v109, v105
	v_sub_nc_u32_e32 v106, v106, v108
	v_min_u32_e32 v108, 32, v109
	v_or_b32_e32 v104, v104, v106
	v_not_b32_e32 v106, v108
	v_mul_f32_e32 v109, 0x3fc90fda, v104
	v_add_lshl_u32 v107, v108, v107, 23
	v_alignbit_b32 v101, v105, v101, v106
	v_fma_f32 v105, 0x3fc90fda, v104, -v109
	v_sub_nc_u32_e32 v102, v102, v107
	v_lshrrev_b32_e32 v101, 9, v101
	v_fmac_f32_e32 v105, 0x33a22168, v104
	v_or_b32_e32 v101, v102, v101
	v_fmac_f32_e32 v105, 0x3fc90fda, v101
	v_lshrrev_b32_e32 v101, 30, v7
	v_add_f32_e32 v7, v109, v105
	v_add_nc_u32_e32 v101, v103, v101
.LBB0_78:                               ;   in Loop: Header=BB0_28 Depth=1
	s_andn2_saveexec_b32 s8, s18
; %bb.79:                               ;   in Loop: Header=BB0_28 Depth=1
	v_mul_f32_e64 v7, 0x3f22f983, |v0|
	v_rndne_f32_e32 v101, v7
	v_fma_f32 v7, 0xbfc90fda, v101, |v0|
	v_fmac_f32_e32 v7, 0xb3a22168, v101
	v_fmac_f32_e32 v7, 0xa7c234c4, v101
	v_cvt_i32_f32_e32 v101, v101
; %bb.80:                               ;   in Loop: Header=BB0_28 Depth=1
	s_or_b32 exec_lo, exec_lo, s8
	v_mul_f32_e32 v102, v7, v7
	v_and_b32_e32 v101, 1, v101
	v_fmaak_f32 v103, s40, v102, 0xbf039337
	v_fmaak_f32 v104, s39, v102, 0x3ec54587
	v_cmp_eq_u32_e32 vcc_lo, 0, v101
	v_fmaak_f32 v103, v102, v103, 0x3f93f425
	v_rcp_f32_e32 v103, v103
	v_mul_f32_e32 v103, v104, v103
	v_mul_f32_e32 v102, v102, v103
	v_fma_f32 v103, v102, v7, v7
	v_rcp_f32_e32 v104, v103
	v_sub_f32_e32 v105, v103, v7
	v_fma_f32 v7, v102, v7, -v105
	v_fma_f32 v102, v103, -v104, 1.0
	v_fma_f32 v7, v7, -v104, v102
	v_fma_f32 v7, v7, -v104, -v104
	v_cndmask_b32_e32 v7, v7, v103, vcc_lo
	v_cmp_class_f32_e64 vcc_lo, v0, 0x1f8
	v_xor3_b32 v1, v1, v0, v7
	v_cndmask_b32_e32 v0, 0x7fc00000, v1, vcc_lo
	v_mul_f32_e32 v0, v100, v0
	v_div_scale_f32 v1, null, v22, v22, v0
	v_div_scale_f32 v102, vcc_lo, v0, v22, v0
	v_rcp_f32_e32 v7, v1
	v_fma_f32 v101, -v1, v7, 1.0
	v_fmac_f32_e32 v7, v101, v7
	v_mul_f32_e32 v101, v102, v7
	v_fma_f32 v103, -v1, v101, v102
	v_fmac_f32_e32 v101, v103, v7
	v_fma_f32 v1, -v1, v101, v102
	v_div_fmas_f32 v1, v1, v7, v101
	v_div_fixup_f32 v0, v1, v22, v0
	v_mul_f32_e32 v101, v41, v0
	v_mul_f32_e32 v102, v42, v0
.LBB0_81:                               ;   in Loop: Header=BB0_28 Depth=1
	s_or_b32 exec_lo, exec_lo, s15
.LBB0_82:                               ;   in Loop: Header=BB0_28 Depth=1
	s_or_b32 exec_lo, exec_lo, s14
                                        ; implicit-def: $vgpr0
.LBB0_83:                               ;   in Loop: Header=BB0_28 Depth=1
	s_andn2_saveexec_b32 s13, s13
	s_cbranch_execz .LBB0_115
; %bb.84:                               ;   in Loop: Header=BB0_28 Depth=1
	s_mov_b32 s8, exec_lo
	v_cmpx_lt_i32_e32 41, v0
	s_xor_b32 s8, exec_lo, s8
	s_cbranch_execz .LBB0_90
; %bb.85:                               ;   in Loop: Header=BB0_28 Depth=1
	s_mov_b32 s9, exec_lo
                                        ; implicit-def: $vgpr102
                                        ; implicit-def: $vgpr101
	v_cmpx_lt_i32_e32 42, v0
	s_xor_b32 s9, exec_lo, s9
	s_cbranch_execz .LBB0_87
; %bb.86:                               ;   in Loop: Header=BB0_28 Depth=1
	s_clause 0x1
	global_load_dword v0, v[9:10], off
	global_load_dword v1, v[11:12], off
	s_waitcnt vmcnt(1)
	v_add_f32_e32 v101, -0.5, v0
	s_waitcnt vmcnt(0)
	v_add_f32_e32 v102, -0.5, v1
.LBB0_87:                               ;   in Loop: Header=BB0_28 Depth=1
	s_andn2_saveexec_b32 s9, s9
; %bb.88:                               ;   in Loop: Header=BB0_28 Depth=1
	v_mov_b32_e32 v102, v40
	v_mov_b32_e32 v101, v39
; %bb.89:                               ;   in Loop: Header=BB0_28 Depth=1
	s_or_b32 exec_lo, exec_lo, s9
                                        ; implicit-def: $vgpr0
.LBB0_90:                               ;   in Loop: Header=BB0_28 Depth=1
	s_andn2_saveexec_b32 s14, s8
	s_cbranch_execz .LBB0_114
; %bb.91:                               ;   in Loop: Header=BB0_28 Depth=1
	s_mov_b32 s8, exec_lo
	v_cmpx_lt_i32_e32 40, v0
	s_xor_b32 s15, exec_lo, s8
	s_cbranch_execz .LBB0_101
; %bb.92:                               ;   in Loop: Header=BB0_28 Depth=1
	global_load_dword v0, v[9:10], off
                                        ; implicit-def: $vgpr102
                                        ; implicit-def: $vgpr101
	s_waitcnt vmcnt(0)
	v_mul_f32_e32 v0, 0x40490fdb, v0
	v_mul_f32_e32 v0, v100, v0
	v_and_b32_e32 v1, 0x7fffffff, v0
	v_cmp_ngt_f32_e64 s18, 0x48000000, |v0|
	v_lshrrev_b32_e32 v7, 23, v1
	v_and_or_b32 v103, v1, s33, 0x800000
	v_add_nc_u32_e32 v104, 0xffffff88, v7
	s_and_saveexec_b32 s8, s18
	s_xor_b32 s19, exec_lo, s8
	s_cbranch_execz .LBB0_94
; %bb.93:                               ;   in Loop: Header=BB0_28 Depth=1
	v_mad_u64_u32 v[101:102], null, 0xfe5163ab, v103, 0
	v_cmp_lt_u32_e32 vcc_lo, 63, v104
	v_mov_b32_e32 v7, v102
	v_cndmask_b32_e64 v102, 0, 0xffffffc0, vcc_lo
	v_mad_u64_u32 v[105:106], null, 0x3c439041, v103, v[7:8]
	v_add_nc_u32_e32 v102, v102, v104
	v_cmp_lt_u32_e64 s8, 31, v102
	v_mov_b32_e32 v7, v106
	v_cndmask_b32_e64 v111, 0, 0xffffffe0, s8
	v_mad_u64_u32 v[106:107], null, 0xdb629599, v103, v[7:8]
	v_add_nc_u32_e32 v102, v111, v102
	v_mov_b32_e32 v7, v107
	v_cmp_lt_u32_e64 s9, 31, v102
	v_cndmask_b32_e32 v101, v106, v101, vcc_lo
	v_mad_u64_u32 v[107:108], null, 0xf534ddc0, v103, v[7:8]
	v_mov_b32_e32 v7, v108
	v_mad_u64_u32 v[108:109], null, 0xfc2757d1, v103, v[7:8]
	v_mov_b32_e32 v7, v109
	;; [unrolled: 2-line block ×3, first 2 shown]
	v_cndmask_b32_e32 v112, v109, v107, vcc_lo
	v_mad_u64_u32 v[110:111], null, 0xa2f9836e, v103, v[7:8]
	v_cndmask_b32_e64 v7, 0, 0xffffffe0, s9
	v_add_nc_u32_e32 v7, v7, v102
	v_cndmask_b32_e32 v110, v110, v108, vcc_lo
	v_cndmask_b32_e32 v109, v111, v109, vcc_lo
	;; [unrolled: 1-line block ×4, first 2 shown]
	v_cmp_eq_u32_e32 vcc_lo, 0, v7
	v_cndmask_b32_e64 v105, v110, v112, s8
	v_cndmask_b32_e64 v107, v109, v110, s8
	;; [unrolled: 1-line block ×3, first 2 shown]
	v_sub_nc_u32_e32 v110, 32, v7
	v_cndmask_b32_e64 v108, v108, v102, s8
	v_cndmask_b32_e64 v101, v102, v101, s8
	;; [unrolled: 1-line block ×6, first 2 shown]
	v_alignbit_b32 v111, v107, v105, v110
	v_alignbit_b32 v106, v105, v109, v110
	;; [unrolled: 1-line block ×3, first 2 shown]
	v_cndmask_b32_e32 v7, v111, v107, vcc_lo
	v_cndmask_b32_e32 v102, v106, v105, vcc_lo
	;; [unrolled: 1-line block ×3, first 2 shown]
	v_bfe_u32 v105, v7, 29, 1
	v_alignbit_b32 v106, v7, v102, 30
	v_alignbit_b32 v102, v102, v108, 30
	;; [unrolled: 1-line block ×3, first 2 shown]
	v_sub_nc_u32_e32 v107, 0, v105
	v_xor_b32_e32 v106, v106, v107
	v_xor_b32_e32 v102, v102, v107
	;; [unrolled: 1-line block ×3, first 2 shown]
	v_lshrrev_b32_e32 v107, 29, v7
	v_lshrrev_b32_e32 v7, 30, v7
	v_ffbh_u32_e32 v109, v106
	v_min_u32_e32 v109, 32, v109
	v_sub_nc_u32_e32 v108, 31, v109
	v_lshlrev_b32_e32 v110, 23, v109
	v_alignbit_b32 v106, v106, v102, v108
	v_alignbit_b32 v101, v102, v101, v108
	v_lshlrev_b32_e32 v102, 31, v107
	v_alignbit_b32 v107, v106, v101, 9
	v_or_b32_e32 v108, 0.5, v102
	v_lshrrev_b32_e32 v106, 9, v106
	v_or_b32_e32 v102, 0x33000000, v102
	v_ffbh_u32_e32 v111, v107
	v_sub_nc_u32_e32 v108, v108, v110
	v_min_u32_e32 v110, 32, v111
	v_or_b32_e32 v106, v106, v108
	v_not_b32_e32 v108, v110
	v_mul_f32_e32 v111, 0x3fc90fda, v106
	v_add_lshl_u32 v109, v110, v109, 23
	v_alignbit_b32 v101, v107, v101, v108
	v_fma_f32 v107, 0x3fc90fda, v106, -v111
	v_sub_nc_u32_e32 v102, v102, v109
	v_lshrrev_b32_e32 v101, 9, v101
	v_fmac_f32_e32 v107, 0x33a22168, v106
	v_or_b32_e32 v101, v102, v101
	v_add_nc_u32_e32 v102, v105, v7
	v_fmac_f32_e32 v107, 0x3fc90fda, v101
	v_add_f32_e32 v101, v111, v107
.LBB0_94:                               ;   in Loop: Header=BB0_28 Depth=1
	s_or_saveexec_b32 s8, s19
	v_mul_f32_e64 v7, 0x3f22f983, |v0|
	v_rndne_f32_e32 v106, v7
	s_xor_b32 exec_lo, exec_lo, s8
; %bb.95:                               ;   in Loop: Header=BB0_28 Depth=1
	v_fma_f32 v101, 0xbfc90fda, v106, |v0|
	v_cvt_i32_f32_e32 v102, v106
	v_fmac_f32_e32 v101, 0xb3a22168, v106
	v_fmac_f32_e32 v101, 0xa7c234c4, v106
; %bb.96:                               ;   in Loop: Header=BB0_28 Depth=1
	s_or_b32 exec_lo, exec_lo, s8
                                        ; implicit-def: $vgpr105
                                        ; implicit-def: $vgpr7
	s_and_saveexec_b32 s8, s18
	s_xor_b32 s18, exec_lo, s8
	s_cbranch_execz .LBB0_98
; %bb.97:                               ;   in Loop: Header=BB0_28 Depth=1
	v_mad_u64_u32 v[105:106], null, 0xfe5163ab, v103, 0
	v_cmp_lt_u32_e32 vcc_lo, 63, v104
	v_cndmask_b32_e64 v111, 0, 0xffffffc0, vcc_lo
	v_mov_b32_e32 v7, v106
	v_add_nc_u32_e32 v104, v111, v104
	v_mad_u64_u32 v[106:107], null, 0x3c439041, v103, v[7:8]
	v_cmp_lt_u32_e64 s8, 31, v104
	v_mov_b32_e32 v7, v107
	v_cndmask_b32_e64 v112, 0, 0xffffffe0, s8
	v_mad_u64_u32 v[107:108], null, 0xdb629599, v103, v[7:8]
	v_mov_b32_e32 v7, v108
	v_cndmask_b32_e32 v105, v107, v105, vcc_lo
	v_mad_u64_u32 v[108:109], null, 0xf534ddc0, v103, v[7:8]
	v_mov_b32_e32 v7, v109
	v_cndmask_b32_e32 v106, v108, v106, vcc_lo
	v_mad_u64_u32 v[109:110], null, 0xfc2757d1, v103, v[7:8]
	v_mov_b32_e32 v7, v110
	v_mad_u64_u32 v[110:111], null, 0x4e441529, v103, v[7:8]
	v_mov_b32_e32 v7, v111
	v_add_nc_u32_e32 v111, v112, v104
	v_cndmask_b32_e32 v112, v110, v108, vcc_lo
	v_mad_u64_u32 v[103:104], null, 0xa2f9836e, v103, v[7:8]
	v_cmp_lt_u32_e64 s9, 31, v111
	v_cndmask_b32_e64 v7, 0, 0xffffffe0, s9
	v_cndmask_b32_e32 v103, v103, v109, vcc_lo
	v_cndmask_b32_e32 v104, v104, v110, vcc_lo
	;; [unrolled: 1-line block ×3, first 2 shown]
	v_add_nc_u32_e32 v7, v7, v111
	v_cndmask_b32_e64 v108, v103, v112, s8
	v_cndmask_b32_e64 v103, v104, v103, s8
	;; [unrolled: 1-line block ×4, first 2 shown]
	v_sub_nc_u32_e32 v110, 32, v7
	v_cmp_eq_u32_e32 vcc_lo, 0, v7
	v_cndmask_b32_e64 v103, v103, v108, s9
	v_cndmask_b32_e64 v108, v108, v104, s9
	;; [unrolled: 1-line block ×3, first 2 shown]
	v_alignbit_b32 v111, v103, v108, v110
	v_alignbit_b32 v107, v108, v104, v110
	v_cndmask_b32_e32 v7, v111, v103, vcc_lo
	v_cndmask_b32_e64 v103, v106, v105, s8
	v_cndmask_b32_e32 v105, v107, v108, vcc_lo
	v_bfe_u32 v106, v7, 29, 1
	v_cndmask_b32_e64 v103, v109, v103, s9
	v_alignbit_b32 v107, v7, v105, 30
	v_sub_nc_u32_e32 v108, 0, v106
	v_alignbit_b32 v109, v104, v103, v110
	v_xor_b32_e32 v107, v107, v108
	v_cndmask_b32_e32 v104, v109, v104, vcc_lo
	v_ffbh_u32_e32 v109, v107
	v_alignbit_b32 v105, v105, v104, 30
	v_alignbit_b32 v103, v104, v103, 30
	v_min_u32_e32 v109, 32, v109
	v_xor_b32_e32 v104, v105, v108
	v_xor_b32_e32 v103, v103, v108
	v_lshrrev_b32_e32 v108, 29, v7
	v_sub_nc_u32_e32 v105, 31, v109
	v_lshlrev_b32_e32 v110, 23, v109
	v_alignbit_b32 v107, v107, v104, v105
	v_alignbit_b32 v103, v104, v103, v105
	v_lshlrev_b32_e32 v104, 31, v108
	v_alignbit_b32 v105, v107, v103, 9
	v_or_b32_e32 v108, 0.5, v104
	v_lshrrev_b32_e32 v107, 9, v107
	v_or_b32_e32 v104, 0x33000000, v104
	v_ffbh_u32_e32 v111, v105
	v_sub_nc_u32_e32 v108, v108, v110
	v_min_u32_e32 v110, 32, v111
	v_or_b32_e32 v107, v107, v108
	v_not_b32_e32 v108, v110
	v_mul_f32_e32 v111, 0x3fc90fda, v107
	v_add_lshl_u32 v109, v110, v109, 23
	v_alignbit_b32 v103, v105, v103, v108
	v_fma_f32 v105, 0x3fc90fda, v107, -v111
	v_sub_nc_u32_e32 v104, v104, v109
	v_lshrrev_b32_e32 v103, 9, v103
	v_fmac_f32_e32 v105, 0x33a22168, v107
	v_or_b32_e32 v103, v104, v103
	v_fmac_f32_e32 v105, 0x3fc90fda, v103
	v_lshrrev_b32_e32 v103, 30, v7
	v_add_f32_e32 v7, v111, v105
	v_add_nc_u32_e32 v105, v106, v103
                                        ; implicit-def: $vgpr106
	s_andn2_saveexec_b32 s8, s18
	s_cbranch_execnz .LBB0_99
	s_branch .LBB0_100
.LBB0_98:                               ;   in Loop: Header=BB0_28 Depth=1
	s_andn2_saveexec_b32 s8, s18
.LBB0_99:                               ;   in Loop: Header=BB0_28 Depth=1
	v_fma_f32 v7, 0xbfc90fda, v106, |v0|
	v_cvt_i32_f32_e32 v105, v106
	v_fmac_f32_e32 v7, 0xb3a22168, v106
	v_fmac_f32_e32 v7, 0xa7c234c4, v106
.LBB0_100:                              ;   in Loop: Header=BB0_28 Depth=1
	s_or_b32 exec_lo, exec_lo, s8
	v_mul_f32_e32 v103, v101, v101
	v_mul_f32_e32 v106, v7, v7
	v_and_b32_e32 v104, 1, v102
	v_lshlrev_b32_e32 v102, 30, v102
	v_and_b32_e32 v111, 1, v105
	v_fmaak_f32 v107, s27, v103, 0x3c0881c4
	v_fmaak_f32 v108, s38, v103, 0xbab64f3b
	v_fmaak_f32 v109, s27, v106, 0x3c0881c4
	v_fmaak_f32 v110, s38, v106, 0xbab64f3b
	v_cmp_eq_u32_e32 vcc_lo, 0, v104
	v_fmaak_f32 v107, v103, v107, 0xbe2aaa9d
	v_fmaak_f32 v108, v103, v108, 0x3d2aabf7
	;; [unrolled: 1-line block ×4, first 2 shown]
	v_xor_b32_e32 v1, v1, v0
	v_mul_f32_e32 v107, v103, v107
	v_fmaak_f32 v108, v103, v108, 0xbf000004
	v_mul_f32_e32 v109, v106, v109
	v_fmaak_f32 v110, v106, v110, 0xbf000004
	v_lshlrev_b32_e32 v105, 30, v105
	v_fmac_f32_e32 v101, v101, v107
	v_fma_f32 v103, v103, v108, 1.0
	v_and_b32_e32 v102, 0x80000000, v102
	v_fmac_f32_e32 v7, v7, v109
	v_fma_f32 v106, v106, v110, 1.0
	v_cndmask_b32_e32 v101, v103, v101, vcc_lo
	v_cmp_eq_u32_e32 vcc_lo, 0, v111
	v_and_b32_e32 v103, 0x80000000, v105
	v_xor3_b32 v1, v1, v102, v101
	v_cndmask_b32_e64 v7, -v7, v106, vcc_lo
	v_cmp_class_f32_e64 vcc_lo, v0, 0x1f8
	v_xor_b32_e32 v7, v103, v7
	v_cndmask_b32_e32 v101, 0x7fc00000, v1, vcc_lo
	v_cndmask_b32_e32 v0, 0x7fc00000, v7, vcc_lo
	v_mul_f32_e32 v1, v101, v101
	v_div_scale_f32 v7, null, v0, v0, v1
	v_rcp_f32_e32 v102, v7
	v_fma_f32 v103, -v7, v102, 1.0
	v_fmac_f32_e32 v102, v103, v102
	v_div_scale_f32 v103, vcc_lo, v1, v0, v1
	v_mul_f32_e32 v104, v103, v102
	v_fma_f32 v105, -v7, v104, v103
	v_fmac_f32_e32 v104, v105, v102
	v_fma_f32 v7, -v7, v104, v103
	v_div_fmas_f32 v7, v7, v102, v104
	v_div_fixup_f32 v102, v7, v0, v1
                                        ; implicit-def: $vgpr0
.LBB0_101:                              ;   in Loop: Header=BB0_28 Depth=1
	s_andn2_saveexec_b32 s15, s15
	s_cbranch_execz .LBB0_113
; %bb.102:                              ;   in Loop: Header=BB0_28 Depth=1
	s_mov_b32 s18, exec_lo
	v_cmpx_eq_u32_e32 34, v0
	s_cbranch_execz .LBB0_112
; %bb.103:                              ;   in Loop: Header=BB0_28 Depth=1
	s_clause 0x1
	global_load_dword v1, v[9:10], off
	global_load_dword v0, v[11:12], off
                                        ; implicit-def: $vgpr103
                                        ; implicit-def: $vgpr102
	s_waitcnt vmcnt(1)
	v_add_f32_e32 v1, v1, v1
	v_mul_f32_e32 v1, 0x40490fdb, v1
	v_and_b32_e32 v101, 0x7fffffff, v1
	v_cmp_ngt_f32_e64 s19, 0x48000000, |v1|
	v_lshrrev_b32_e32 v7, 23, v101
	v_and_or_b32 v104, v101, s33, 0x800000
	v_add_nc_u32_e32 v105, 0xffffff88, v7
	s_and_saveexec_b32 s8, s19
	s_xor_b32 s20, exec_lo, s8
	s_cbranch_execz .LBB0_105
; %bb.104:                              ;   in Loop: Header=BB0_28 Depth=1
	v_mad_u64_u32 v[102:103], null, 0xfe5163ab, v104, 0
	v_cmp_lt_u32_e32 vcc_lo, 63, v105
	v_mov_b32_e32 v7, v103
	v_cndmask_b32_e64 v103, 0, 0xffffffc0, vcc_lo
	v_mad_u64_u32 v[106:107], null, 0x3c439041, v104, v[7:8]
	v_add_nc_u32_e32 v103, v103, v105
	v_cmp_lt_u32_e64 s8, 31, v103
	v_mov_b32_e32 v7, v107
	v_cndmask_b32_e64 v112, 0, 0xffffffe0, s8
	v_mad_u64_u32 v[107:108], null, 0xdb629599, v104, v[7:8]
	v_add_nc_u32_e32 v103, v112, v103
	v_mov_b32_e32 v7, v108
	v_cmp_lt_u32_e64 s9, 31, v103
	v_cndmask_b32_e32 v102, v107, v102, vcc_lo
	v_mad_u64_u32 v[108:109], null, 0xf534ddc0, v104, v[7:8]
	v_mov_b32_e32 v7, v109
	v_mad_u64_u32 v[109:110], null, 0xfc2757d1, v104, v[7:8]
	v_mov_b32_e32 v7, v110
	;; [unrolled: 2-line block ×3, first 2 shown]
	v_cndmask_b32_e32 v113, v110, v108, vcc_lo
	v_mad_u64_u32 v[111:112], null, 0xa2f9836e, v104, v[7:8]
	v_cndmask_b32_e64 v7, 0, 0xffffffe0, s9
	v_add_nc_u32_e32 v7, v7, v103
	v_cndmask_b32_e32 v111, v111, v109, vcc_lo
	v_cndmask_b32_e32 v110, v112, v110, vcc_lo
	v_cndmask_b32_e32 v109, v109, v107, vcc_lo
	v_cndmask_b32_e32 v103, v108, v106, vcc_lo
	v_cmp_eq_u32_e32 vcc_lo, 0, v7
	v_cndmask_b32_e64 v106, v111, v113, s8
	v_cndmask_b32_e64 v108, v110, v111, s8
	;; [unrolled: 1-line block ×3, first 2 shown]
	v_sub_nc_u32_e32 v111, 32, v7
	v_cndmask_b32_e64 v109, v109, v103, s8
	v_cndmask_b32_e64 v102, v103, v102, s8
	;; [unrolled: 1-line block ×6, first 2 shown]
	v_alignbit_b32 v112, v108, v106, v111
	v_alignbit_b32 v107, v106, v110, v111
	;; [unrolled: 1-line block ×3, first 2 shown]
	v_cndmask_b32_e32 v7, v112, v108, vcc_lo
	v_cndmask_b32_e32 v103, v107, v106, vcc_lo
	;; [unrolled: 1-line block ×3, first 2 shown]
	v_bfe_u32 v106, v7, 29, 1
	v_alignbit_b32 v107, v7, v103, 30
	v_alignbit_b32 v103, v103, v109, 30
	;; [unrolled: 1-line block ×3, first 2 shown]
	v_sub_nc_u32_e32 v108, 0, v106
	v_xor_b32_e32 v107, v107, v108
	v_xor_b32_e32 v103, v103, v108
	v_xor_b32_e32 v102, v102, v108
	v_lshrrev_b32_e32 v108, 29, v7
	v_lshrrev_b32_e32 v7, 30, v7
	v_ffbh_u32_e32 v110, v107
	v_min_u32_e32 v110, 32, v110
	v_sub_nc_u32_e32 v109, 31, v110
	v_lshlrev_b32_e32 v111, 23, v110
	v_alignbit_b32 v107, v107, v103, v109
	v_alignbit_b32 v102, v103, v102, v109
	v_lshlrev_b32_e32 v103, 31, v108
	v_alignbit_b32 v108, v107, v102, 9
	v_or_b32_e32 v109, 0.5, v103
	v_lshrrev_b32_e32 v107, 9, v107
	v_or_b32_e32 v103, 0x33000000, v103
	v_ffbh_u32_e32 v112, v108
	v_sub_nc_u32_e32 v109, v109, v111
	v_min_u32_e32 v111, 32, v112
	v_or_b32_e32 v107, v107, v109
	v_not_b32_e32 v109, v111
	v_mul_f32_e32 v112, 0x3fc90fda, v107
	v_add_lshl_u32 v110, v111, v110, 23
	v_alignbit_b32 v102, v108, v102, v109
	v_fma_f32 v108, 0x3fc90fda, v107, -v112
	v_sub_nc_u32_e32 v103, v103, v110
	v_lshrrev_b32_e32 v102, 9, v102
	v_fmac_f32_e32 v108, 0x33a22168, v107
	v_or_b32_e32 v102, v103, v102
	v_add_nc_u32_e32 v103, v106, v7
	v_fmac_f32_e32 v108, 0x3fc90fda, v102
	v_add_f32_e32 v102, v112, v108
.LBB0_105:                              ;   in Loop: Header=BB0_28 Depth=1
	s_or_saveexec_b32 s8, s20
	v_mul_f32_e64 v7, 0x3f22f983, |v1|
	v_rndne_f32_e32 v107, v7
	s_xor_b32 exec_lo, exec_lo, s8
; %bb.106:                              ;   in Loop: Header=BB0_28 Depth=1
	v_fma_f32 v102, 0xbfc90fda, v107, |v1|
	v_cvt_i32_f32_e32 v103, v107
	v_fmac_f32_e32 v102, 0xb3a22168, v107
	v_fmac_f32_e32 v102, 0xa7c234c4, v107
; %bb.107:                              ;   in Loop: Header=BB0_28 Depth=1
	s_or_b32 exec_lo, exec_lo, s8
                                        ; implicit-def: $vgpr106
                                        ; implicit-def: $vgpr7
	s_and_saveexec_b32 s8, s19
	s_xor_b32 s19, exec_lo, s8
	s_cbranch_execz .LBB0_109
; %bb.108:                              ;   in Loop: Header=BB0_28 Depth=1
	v_mad_u64_u32 v[106:107], null, 0xfe5163ab, v104, 0
	v_cmp_lt_u32_e32 vcc_lo, 63, v105
	v_cndmask_b32_e64 v112, 0, 0xffffffc0, vcc_lo
	v_mov_b32_e32 v7, v107
	v_add_nc_u32_e32 v105, v112, v105
	v_mad_u64_u32 v[107:108], null, 0x3c439041, v104, v[7:8]
	v_cmp_lt_u32_e64 s8, 31, v105
	v_mov_b32_e32 v7, v108
	v_cndmask_b32_e64 v113, 0, 0xffffffe0, s8
	v_mad_u64_u32 v[108:109], null, 0xdb629599, v104, v[7:8]
	v_mov_b32_e32 v7, v109
	v_cndmask_b32_e32 v106, v108, v106, vcc_lo
	v_mad_u64_u32 v[109:110], null, 0xf534ddc0, v104, v[7:8]
	v_mov_b32_e32 v7, v110
	v_cndmask_b32_e32 v107, v109, v107, vcc_lo
	v_mad_u64_u32 v[110:111], null, 0xfc2757d1, v104, v[7:8]
	v_mov_b32_e32 v7, v111
	v_mad_u64_u32 v[111:112], null, 0x4e441529, v104, v[7:8]
	v_mov_b32_e32 v7, v112
	v_add_nc_u32_e32 v112, v113, v105
	v_cndmask_b32_e32 v113, v111, v109, vcc_lo
	v_mad_u64_u32 v[104:105], null, 0xa2f9836e, v104, v[7:8]
	v_cmp_lt_u32_e64 s9, 31, v112
	v_cndmask_b32_e64 v7, 0, 0xffffffe0, s9
	v_cndmask_b32_e32 v104, v104, v110, vcc_lo
	v_cndmask_b32_e32 v105, v105, v111, vcc_lo
	;; [unrolled: 1-line block ×3, first 2 shown]
	v_add_nc_u32_e32 v7, v7, v112
	v_cndmask_b32_e64 v109, v104, v113, s8
	v_cndmask_b32_e64 v104, v105, v104, s8
	;; [unrolled: 1-line block ×4, first 2 shown]
	v_sub_nc_u32_e32 v111, 32, v7
	v_cmp_eq_u32_e32 vcc_lo, 0, v7
	v_cndmask_b32_e64 v104, v104, v109, s9
	v_cndmask_b32_e64 v109, v109, v105, s9
	;; [unrolled: 1-line block ×3, first 2 shown]
	v_alignbit_b32 v112, v104, v109, v111
	v_alignbit_b32 v108, v109, v105, v111
	v_cndmask_b32_e32 v7, v112, v104, vcc_lo
	v_cndmask_b32_e64 v104, v107, v106, s8
	v_cndmask_b32_e32 v106, v108, v109, vcc_lo
	v_bfe_u32 v107, v7, 29, 1
	v_cndmask_b32_e64 v104, v110, v104, s9
	v_alignbit_b32 v108, v7, v106, 30
	v_sub_nc_u32_e32 v109, 0, v107
	v_alignbit_b32 v110, v105, v104, v111
	v_xor_b32_e32 v108, v108, v109
	v_cndmask_b32_e32 v105, v110, v105, vcc_lo
	v_ffbh_u32_e32 v110, v108
	v_alignbit_b32 v106, v106, v105, 30
	v_alignbit_b32 v104, v105, v104, 30
	v_min_u32_e32 v110, 32, v110
	v_xor_b32_e32 v105, v106, v109
	v_xor_b32_e32 v104, v104, v109
	v_lshrrev_b32_e32 v109, 29, v7
	v_sub_nc_u32_e32 v106, 31, v110
	v_lshlrev_b32_e32 v111, 23, v110
	v_alignbit_b32 v108, v108, v105, v106
	v_alignbit_b32 v104, v105, v104, v106
	v_lshlrev_b32_e32 v105, 31, v109
	v_alignbit_b32 v106, v108, v104, 9
	v_or_b32_e32 v109, 0.5, v105
	v_lshrrev_b32_e32 v108, 9, v108
	v_or_b32_e32 v105, 0x33000000, v105
	v_ffbh_u32_e32 v112, v106
	v_sub_nc_u32_e32 v109, v109, v111
	v_min_u32_e32 v111, 32, v112
	v_or_b32_e32 v108, v108, v109
	v_not_b32_e32 v109, v111
	v_mul_f32_e32 v112, 0x3fc90fda, v108
	v_add_lshl_u32 v110, v111, v110, 23
	v_alignbit_b32 v104, v106, v104, v109
	v_fma_f32 v106, 0x3fc90fda, v108, -v112
	v_sub_nc_u32_e32 v105, v105, v110
	v_lshrrev_b32_e32 v104, 9, v104
	v_fmac_f32_e32 v106, 0x33a22168, v108
	v_or_b32_e32 v104, v105, v104
	v_fmac_f32_e32 v106, 0x3fc90fda, v104
	v_lshrrev_b32_e32 v104, 30, v7
	v_add_f32_e32 v7, v112, v106
	v_add_nc_u32_e32 v106, v107, v104
                                        ; implicit-def: $vgpr107
	s_andn2_saveexec_b32 s8, s19
	s_cbranch_execnz .LBB0_110
	s_branch .LBB0_111
.LBB0_109:                              ;   in Loop: Header=BB0_28 Depth=1
	s_andn2_saveexec_b32 s8, s19
.LBB0_110:                              ;   in Loop: Header=BB0_28 Depth=1
	v_fma_f32 v7, 0xbfc90fda, v107, |v1|
	v_cvt_i32_f32_e32 v106, v107
	v_fmac_f32_e32 v7, 0xb3a22168, v107
	v_fmac_f32_e32 v7, 0xa7c234c4, v107
.LBB0_111:                              ;   in Loop: Header=BB0_28 Depth=1
	s_or_b32 exec_lo, exec_lo, s8
	v_mul_f32_e32 v104, v102, v102
	v_mul_f32_e32 v107, v7, v7
	v_and_b32_e32 v105, 1, v103
	v_and_b32_e32 v110, 1, v106
	v_lshlrev_b32_e32 v103, 30, v103
	v_fmaak_f32 v108, s27, v104, 0x3c0881c4
	v_fmaak_f32 v109, s38, v104, 0xbab64f3b
	v_fmaak_f32 v111, s27, v107, 0x3c0881c4
	v_fmaak_f32 v112, s38, v107, 0xbab64f3b
	v_cmp_eq_u32_e32 vcc_lo, 0, v105
	v_fmaak_f32 v108, v104, v108, 0xbe2aaa9d
	v_fmaak_f32 v109, v104, v109, 0x3d2aabf7
	;; [unrolled: 1-line block ×4, first 2 shown]
	v_lshlrev_b32_e32 v106, 30, v106
	v_mul_f32_e32 v108, v104, v108
	v_fmaak_f32 v109, v104, v109, 0xbf000004
	v_mul_f32_e32 v111, v107, v111
	v_fmaak_f32 v112, v107, v112, 0xbf000004
	v_and_b32_e32 v103, 0x80000000, v103
	v_fmac_f32_e32 v102, v102, v108
	v_fma_f32 v104, v104, v109, 1.0
	v_fmac_f32_e32 v7, v7, v111
	v_fma_f32 v107, v107, v112, 1.0
	v_and_b32_e32 v106, 0x80000000, v106
	v_xor_b32_e32 v101, v101, v1
	v_cndmask_b32_e64 v102, -v102, v104, vcc_lo
	v_cmp_eq_u32_e32 vcc_lo, 0, v110
	v_xor_b32_e32 v102, v103, v102
	v_cndmask_b32_e32 v7, v107, v7, vcc_lo
	v_cmp_class_f32_e64 vcc_lo, v1, 0x1f8
	v_xor3_b32 v7, v101, v106, v7
	v_cndmask_b32_e32 v1, 0x7fc00000, v102, vcc_lo
	v_cndmask_b32_e32 v7, 0x7fc00000, v7, vcc_lo
	s_waitcnt vmcnt(0)
	v_mul_f32_e32 v101, v0, v1
	v_mul_f32_e32 v102, v0, v7
.LBB0_112:                              ;   in Loop: Header=BB0_28 Depth=1
	s_or_b32 exec_lo, exec_lo, s18
.LBB0_113:                              ;   in Loop: Header=BB0_28 Depth=1
	s_or_b32 exec_lo, exec_lo, s15
.LBB0_114:                              ;   in Loop: Header=BB0_28 Depth=1
	s_or_b32 exec_lo, exec_lo, s14
.LBB0_115:                              ;   in Loop: Header=BB0_28 Depth=1
	s_or_b32 exec_lo, exec_lo, s13
                                        ; implicit-def: $vgpr0
.LBB0_116:                              ;   in Loop: Header=BB0_28 Depth=1
	s_andn2_saveexec_b32 s12, s12
	s_cbranch_execz .LBB0_174
; %bb.117:                              ;   in Loop: Header=BB0_28 Depth=1
	s_mov_b32 s8, exec_lo
	v_cmpx_lt_i32_e32 21, v0
	s_xor_b32 s13, exec_lo, s8
	s_cbranch_execz .LBB0_155
; %bb.118:                              ;   in Loop: Header=BB0_28 Depth=1
	s_mov_b32 s8, exec_lo
	v_cmpx_lt_i32_e32 27, v0
	s_xor_b32 s14, exec_lo, s8
	;; [unrolled: 5-line block ×4, first 2 shown]
	s_cbranch_execz .LBB0_132
; %bb.121:                              ;   in Loop: Header=BB0_28 Depth=1
	s_mov_b32 s19, exec_lo
	v_cmpx_eq_u32_e32 31, v0
	s_cbranch_execz .LBB0_131
; %bb.122:                              ;   in Loop: Header=BB0_28 Depth=1
	s_clause 0x1
	global_load_dword v1, v[9:10], off
	global_load_dword v0, v[11:12], off
                                        ; implicit-def: $vgpr105
                                        ; implicit-def: $vgpr104
	s_waitcnt vmcnt(1)
	v_add_f32_e32 v1, v1, v1
	v_mul_f32_e32 v1, 0x40490fdb, v1
	v_and_b32_e32 v103, 0x7fffffff, v1
	v_cmp_ngt_f32_e64 s20, 0x48000000, |v1|
	v_lshrrev_b32_e32 v7, 23, v103
	v_and_or_b32 v106, v103, s33, 0x800000
	v_add_nc_u32_e32 v107, 0xffffff88, v7
	s_and_saveexec_b32 s8, s20
	s_xor_b32 s21, exec_lo, s8
	s_cbranch_execz .LBB0_124
; %bb.123:                              ;   in Loop: Header=BB0_28 Depth=1
	v_mad_u64_u32 v[104:105], null, 0xfe5163ab, v106, 0
	v_cmp_lt_u32_e32 vcc_lo, 63, v107
	v_mov_b32_e32 v7, v105
	v_cndmask_b32_e64 v105, 0, 0xffffffc0, vcc_lo
	v_mad_u64_u32 v[108:109], null, 0x3c439041, v106, v[7:8]
	v_add_nc_u32_e32 v105, v105, v107
	v_cmp_lt_u32_e64 s8, 31, v105
	v_mov_b32_e32 v7, v109
	v_cndmask_b32_e64 v114, 0, 0xffffffe0, s8
	v_mad_u64_u32 v[109:110], null, 0xdb629599, v106, v[7:8]
	v_add_nc_u32_e32 v105, v114, v105
	v_mov_b32_e32 v7, v110
	v_cmp_lt_u32_e64 s9, 31, v105
	v_cndmask_b32_e32 v104, v109, v104, vcc_lo
	v_mad_u64_u32 v[110:111], null, 0xf534ddc0, v106, v[7:8]
	v_mov_b32_e32 v7, v111
	v_mad_u64_u32 v[111:112], null, 0xfc2757d1, v106, v[7:8]
	v_mov_b32_e32 v7, v112
	;; [unrolled: 2-line block ×3, first 2 shown]
	v_cndmask_b32_e32 v115, v112, v110, vcc_lo
	v_mad_u64_u32 v[113:114], null, 0xa2f9836e, v106, v[7:8]
	v_cndmask_b32_e64 v7, 0, 0xffffffe0, s9
	v_add_nc_u32_e32 v7, v7, v105
	v_cndmask_b32_e32 v113, v113, v111, vcc_lo
	v_cndmask_b32_e32 v112, v114, v112, vcc_lo
	;; [unrolled: 1-line block ×4, first 2 shown]
	v_cmp_eq_u32_e32 vcc_lo, 0, v7
	v_cndmask_b32_e64 v108, v113, v115, s8
	v_cndmask_b32_e64 v110, v112, v113, s8
	;; [unrolled: 1-line block ×3, first 2 shown]
	v_sub_nc_u32_e32 v113, 32, v7
	v_cndmask_b32_e64 v111, v111, v105, s8
	v_cndmask_b32_e64 v104, v105, v104, s8
	;; [unrolled: 1-line block ×6, first 2 shown]
	v_alignbit_b32 v114, v110, v108, v113
	v_alignbit_b32 v109, v108, v112, v113
	v_alignbit_b32 v111, v112, v104, v113
	v_cndmask_b32_e32 v7, v114, v110, vcc_lo
	v_cndmask_b32_e32 v105, v109, v108, vcc_lo
	;; [unrolled: 1-line block ×3, first 2 shown]
	v_bfe_u32 v108, v7, 29, 1
	v_alignbit_b32 v109, v7, v105, 30
	v_alignbit_b32 v105, v105, v111, 30
	;; [unrolled: 1-line block ×3, first 2 shown]
	v_sub_nc_u32_e32 v110, 0, v108
	v_xor_b32_e32 v109, v109, v110
	v_xor_b32_e32 v105, v105, v110
	;; [unrolled: 1-line block ×3, first 2 shown]
	v_lshrrev_b32_e32 v110, 29, v7
	v_lshrrev_b32_e32 v7, 30, v7
	v_ffbh_u32_e32 v112, v109
	v_min_u32_e32 v112, 32, v112
	v_sub_nc_u32_e32 v111, 31, v112
	v_lshlrev_b32_e32 v113, 23, v112
	v_alignbit_b32 v109, v109, v105, v111
	v_alignbit_b32 v104, v105, v104, v111
	v_lshlrev_b32_e32 v105, 31, v110
	v_alignbit_b32 v110, v109, v104, 9
	v_or_b32_e32 v111, 0.5, v105
	v_lshrrev_b32_e32 v109, 9, v109
	v_or_b32_e32 v105, 0x33000000, v105
	v_ffbh_u32_e32 v114, v110
	v_sub_nc_u32_e32 v111, v111, v113
	v_min_u32_e32 v113, 32, v114
	v_or_b32_e32 v109, v109, v111
	v_not_b32_e32 v111, v113
	v_mul_f32_e32 v114, 0x3fc90fda, v109
	v_add_lshl_u32 v112, v113, v112, 23
	v_alignbit_b32 v104, v110, v104, v111
	v_fma_f32 v110, 0x3fc90fda, v109, -v114
	v_sub_nc_u32_e32 v105, v105, v112
	v_lshrrev_b32_e32 v104, 9, v104
	v_fmac_f32_e32 v110, 0x33a22168, v109
	v_or_b32_e32 v104, v105, v104
	v_add_nc_u32_e32 v105, v108, v7
	v_fmac_f32_e32 v110, 0x3fc90fda, v104
	v_add_f32_e32 v104, v114, v110
.LBB0_124:                              ;   in Loop: Header=BB0_28 Depth=1
	s_or_saveexec_b32 s8, s21
	v_mul_f32_e64 v7, 0x3f22f983, |v1|
	v_rndne_f32_e32 v109, v7
	s_xor_b32 exec_lo, exec_lo, s8
; %bb.125:                              ;   in Loop: Header=BB0_28 Depth=1
	v_fma_f32 v104, 0xbfc90fda, v109, |v1|
	v_cvt_i32_f32_e32 v105, v109
	v_fmac_f32_e32 v104, 0xb3a22168, v109
	v_fmac_f32_e32 v104, 0xa7c234c4, v109
; %bb.126:                              ;   in Loop: Header=BB0_28 Depth=1
	s_or_b32 exec_lo, exec_lo, s8
                                        ; implicit-def: $vgpr108
                                        ; implicit-def: $vgpr7
	s_and_saveexec_b32 s8, s20
	s_xor_b32 s20, exec_lo, s8
	s_cbranch_execz .LBB0_128
; %bb.127:                              ;   in Loop: Header=BB0_28 Depth=1
	v_mad_u64_u32 v[108:109], null, 0xfe5163ab, v106, 0
	v_cmp_lt_u32_e32 vcc_lo, 63, v107
	v_cndmask_b32_e64 v114, 0, 0xffffffc0, vcc_lo
	v_mov_b32_e32 v7, v109
	v_add_nc_u32_e32 v107, v114, v107
	v_mad_u64_u32 v[109:110], null, 0x3c439041, v106, v[7:8]
	v_cmp_lt_u32_e64 s8, 31, v107
	v_mov_b32_e32 v7, v110
	v_cndmask_b32_e64 v115, 0, 0xffffffe0, s8
	v_mad_u64_u32 v[110:111], null, 0xdb629599, v106, v[7:8]
	v_mov_b32_e32 v7, v111
	v_cndmask_b32_e32 v108, v110, v108, vcc_lo
	v_mad_u64_u32 v[111:112], null, 0xf534ddc0, v106, v[7:8]
	v_mov_b32_e32 v7, v112
	v_cndmask_b32_e32 v109, v111, v109, vcc_lo
	v_mad_u64_u32 v[112:113], null, 0xfc2757d1, v106, v[7:8]
	v_mov_b32_e32 v7, v113
	v_mad_u64_u32 v[113:114], null, 0x4e441529, v106, v[7:8]
	v_mov_b32_e32 v7, v114
	v_add_nc_u32_e32 v114, v115, v107
	v_cndmask_b32_e32 v115, v113, v111, vcc_lo
	v_mad_u64_u32 v[106:107], null, 0xa2f9836e, v106, v[7:8]
	v_cmp_lt_u32_e64 s9, 31, v114
	v_cndmask_b32_e64 v7, 0, 0xffffffe0, s9
	v_cndmask_b32_e32 v106, v106, v112, vcc_lo
	v_cndmask_b32_e32 v107, v107, v113, vcc_lo
	;; [unrolled: 1-line block ×3, first 2 shown]
	v_add_nc_u32_e32 v7, v7, v114
	v_cndmask_b32_e64 v111, v106, v115, s8
	v_cndmask_b32_e64 v106, v107, v106, s8
	;; [unrolled: 1-line block ×4, first 2 shown]
	v_sub_nc_u32_e32 v113, 32, v7
	v_cmp_eq_u32_e32 vcc_lo, 0, v7
	v_cndmask_b32_e64 v106, v106, v111, s9
	v_cndmask_b32_e64 v111, v111, v107, s9
	;; [unrolled: 1-line block ×3, first 2 shown]
	v_alignbit_b32 v114, v106, v111, v113
	v_alignbit_b32 v110, v111, v107, v113
	v_cndmask_b32_e32 v7, v114, v106, vcc_lo
	v_cndmask_b32_e64 v106, v109, v108, s8
	v_cndmask_b32_e32 v108, v110, v111, vcc_lo
	v_bfe_u32 v109, v7, 29, 1
	v_cndmask_b32_e64 v106, v112, v106, s9
	v_alignbit_b32 v110, v7, v108, 30
	v_sub_nc_u32_e32 v111, 0, v109
	v_alignbit_b32 v112, v107, v106, v113
	v_xor_b32_e32 v110, v110, v111
	v_cndmask_b32_e32 v107, v112, v107, vcc_lo
	v_ffbh_u32_e32 v112, v110
	v_alignbit_b32 v108, v108, v107, 30
	v_alignbit_b32 v106, v107, v106, 30
	v_min_u32_e32 v112, 32, v112
	v_xor_b32_e32 v107, v108, v111
	v_xor_b32_e32 v106, v106, v111
	v_lshrrev_b32_e32 v111, 29, v7
	v_sub_nc_u32_e32 v108, 31, v112
	v_lshlrev_b32_e32 v113, 23, v112
	v_alignbit_b32 v110, v110, v107, v108
	v_alignbit_b32 v106, v107, v106, v108
	v_lshlrev_b32_e32 v107, 31, v111
	v_alignbit_b32 v108, v110, v106, 9
	v_or_b32_e32 v111, 0.5, v107
	v_lshrrev_b32_e32 v110, 9, v110
	v_or_b32_e32 v107, 0x33000000, v107
	v_ffbh_u32_e32 v114, v108
	v_sub_nc_u32_e32 v111, v111, v113
	v_min_u32_e32 v113, 32, v114
	v_or_b32_e32 v110, v110, v111
	v_not_b32_e32 v111, v113
	v_mul_f32_e32 v114, 0x3fc90fda, v110
	v_add_lshl_u32 v112, v113, v112, 23
	v_alignbit_b32 v106, v108, v106, v111
	v_fma_f32 v108, 0x3fc90fda, v110, -v114
	v_sub_nc_u32_e32 v107, v107, v112
	v_lshrrev_b32_e32 v106, 9, v106
	v_fmac_f32_e32 v108, 0x33a22168, v110
	v_or_b32_e32 v106, v107, v106
	v_fmac_f32_e32 v108, 0x3fc90fda, v106
	v_lshrrev_b32_e32 v106, 30, v7
	v_add_f32_e32 v7, v114, v108
	v_add_nc_u32_e32 v108, v109, v106
                                        ; implicit-def: $vgpr109
	s_andn2_saveexec_b32 s8, s20
	s_cbranch_execnz .LBB0_129
	s_branch .LBB0_130
.LBB0_128:                              ;   in Loop: Header=BB0_28 Depth=1
	s_andn2_saveexec_b32 s8, s20
.LBB0_129:                              ;   in Loop: Header=BB0_28 Depth=1
	v_fma_f32 v7, 0xbfc90fda, v109, |v1|
	v_cvt_i32_f32_e32 v108, v109
	v_fmac_f32_e32 v7, 0xb3a22168, v109
	v_fmac_f32_e32 v7, 0xa7c234c4, v109
.LBB0_130:                              ;   in Loop: Header=BB0_28 Depth=1
	s_or_b32 exec_lo, exec_lo, s8
	v_mul_f32_e32 v106, v104, v104
	v_mul_f32_e32 v109, v7, v7
	v_and_b32_e32 v107, 1, v105
	v_and_b32_e32 v112, 1, v108
	v_lshlrev_b32_e32 v105, 30, v105
	v_fmaak_f32 v110, s27, v106, 0x3c0881c4
	v_fmaak_f32 v111, s38, v106, 0xbab64f3b
	;; [unrolled: 1-line block ×4, first 2 shown]
	v_cmp_eq_u32_e32 vcc_lo, 0, v107
	v_fmaak_f32 v110, v106, v110, 0xbe2aaa9d
	v_fmaak_f32 v111, v106, v111, 0x3d2aabf7
	;; [unrolled: 1-line block ×4, first 2 shown]
	v_lshlrev_b32_e32 v108, 30, v108
	v_mul_f32_e32 v110, v106, v110
	v_fmaak_f32 v111, v106, v111, 0xbf000004
	v_mul_f32_e32 v113, v109, v113
	v_fmaak_f32 v114, v109, v114, 0xbf000004
	v_and_b32_e32 v105, 0x80000000, v105
	v_fmac_f32_e32 v104, v104, v110
	v_fma_f32 v106, v106, v111, 1.0
	v_fmac_f32_e32 v7, v7, v113
	v_fma_f32 v109, v109, v114, 1.0
	v_and_b32_e32 v108, 0x80000000, v108
	v_xor_b32_e32 v103, v103, v1
	v_cndmask_b32_e64 v104, -v104, v106, vcc_lo
	v_cmp_eq_u32_e32 vcc_lo, 0, v112
	v_xor_b32_e32 v104, v105, v104
	v_cndmask_b32_e32 v7, v109, v7, vcc_lo
	v_cmp_class_f32_e64 vcc_lo, v1, 0x1f8
	v_xor3_b32 v1, v103, v108, v7
	s_waitcnt vmcnt(0)
	v_mul_f32_e32 v7, v101, v0
	v_mul_f32_e32 v0, v102, v0
	v_cndmask_b32_e32 v101, 0x7fc00000, v104, vcc_lo
	v_cndmask_b32_e32 v1, 0x7fc00000, v1, vcc_lo
	v_mul_f32_e32 v101, v7, v101
	v_mul_f32_e32 v102, v0, v1
.LBB0_131:                              ;   in Loop: Header=BB0_28 Depth=1
	s_or_b32 exec_lo, exec_lo, s19
                                        ; implicit-def: $vgpr0
.LBB0_132:                              ;   in Loop: Header=BB0_28 Depth=1
	s_andn2_saveexec_b32 s8, s18
	s_cbranch_execz .LBB0_136
; %bb.133:                              ;   in Loop: Header=BB0_28 Depth=1
	s_mov_b32 s9, exec_lo
	v_cmpx_eq_u32_e32 29, v0
; %bb.134:                              ;   in Loop: Header=BB0_28 Depth=1
	v_mov_b32_e32 v102, v3
	v_mov_b32_e32 v101, v38
; %bb.135:                              ;   in Loop: Header=BB0_28 Depth=1
	s_or_b32 exec_lo, exec_lo, s9
.LBB0_136:                              ;   in Loop: Header=BB0_28 Depth=1
	s_or_b32 exec_lo, exec_lo, s8
.LBB0_137:                              ;   in Loop: Header=BB0_28 Depth=1
	s_andn2_saveexec_b32 s8, s15
; %bb.138:                              ;   in Loop: Header=BB0_28 Depth=1
	v_mov_b32_e32 v102, v24
	v_mov_b32_e32 v101, v23
; %bb.139:                              ;   in Loop: Header=BB0_28 Depth=1
	s_or_b32 exec_lo, exec_lo, s8
                                        ; implicit-def: $vgpr0
.LBB0_140:                              ;   in Loop: Header=BB0_28 Depth=1
	s_andn2_saveexec_b32 s9, s14
	s_cbranch_execz .LBB0_154
; %bb.141:                              ;   in Loop: Header=BB0_28 Depth=1
	s_mov_b32 s8, exec_lo
	v_cmpx_lt_i32_e32 26, v0
	s_xor_b32 s8, exec_lo, s8
; %bb.142:                              ;   in Loop: Header=BB0_28 Depth=1
                                        ; implicit-def: $vgpr102
                                        ; implicit-def: $vgpr101
                                        ; implicit-def: $vgpr0
; %bb.143:                              ;   in Loop: Header=BB0_28 Depth=1
	s_or_saveexec_b32 s14, s8
	v_mov_b32_e32 v1, v26
	v_mov_b32_e32 v7, v25
	s_xor_b32 exec_lo, exec_lo, s14
	s_cbranch_execz .LBB0_153
; %bb.144:                              ;   in Loop: Header=BB0_28 Depth=1
	s_mov_b32 s15, exec_lo
	v_cmpx_eq_u32_e32 22, v0
	s_cbranch_execz .LBB0_152
; %bb.145:                              ;   in Loop: Header=BB0_28 Depth=1
	v_mov_b32_e32 v0, v67
	s_and_saveexec_b32 s8, s16
	s_cbranch_execz .LBB0_151
; %bb.146:                              ;   in Loop: Header=BB0_28 Depth=1
	v_mov_b32_e32 v1, v68
	v_mov_b32_e32 v0, v71
	s_and_saveexec_b32 s18, s0
	s_cbranch_execz .LBB0_150
; %bb.147:                              ;   in Loop: Header=BB0_28 Depth=1
	v_mov_b32_e32 v1, v68
	v_mov_b32_e32 v0, v71
	s_mov_b32 s19, 0
.LBB0_148:                              ;   Parent Loop BB0_28 Depth=1
                                        ; =>  This Inner Loop Header: Depth=2
	v_mul_f32_e32 v7, v72, v1
	v_rndne_f32_e32 v7, v7
	v_fma_f32 v1, -v7, v70, v1
	v_add_f32_e32 v7, v70, v1
	v_cmp_gt_f32_e32 vcc_lo, 0, v1
	v_cndmask_b32_e32 v1, v1, v7, vcc_lo
	v_cmp_gt_u32_e32 vcc_lo, 25, v0
	v_add_nc_u32_e32 v0, -12, v0
	v_ldexp_f32 v1, v1, 12
	s_or_b32 s19, vcc_lo, s19
	s_andn2_b32 exec_lo, exec_lo, s19
	s_cbranch_execnz .LBB0_148
; %bb.149:                              ;   in Loop: Header=BB0_28 Depth=1
	s_or_b32 exec_lo, exec_lo, s19
.LBB0_150:                              ;   in Loop: Header=BB0_28 Depth=1
	s_or_b32 exec_lo, exec_lo, s18
	v_add_nc_u32_e32 v0, -11, v0
	v_ldexp_f32 v0, v1, v0
	v_mul_f32_e32 v1, v72, v0
	v_rndne_f32_e32 v1, v1
	v_fma_f32 v0, -v1, v70, v0
	v_add_f32_e32 v1, v70, v0
	v_cmp_gt_f32_e32 vcc_lo, 0, v0
	v_cndmask_b32_e32 v0, v0, v1, vcc_lo
	v_ldexp_f32 v0, v0, v69
	v_xor_b32_e32 v0, v73, v0
.LBB0_151:                              ;   in Loop: Header=BB0_28 Depth=1
	s_or_b32 exec_lo, exec_lo, s8
	v_cndmask_b32_e64 v0, v0, 0x7fc00000, s1
	v_cndmask_b32_e64 v1, 0, 1, s3
	;; [unrolled: 1-line block ×3, first 2 shown]
	v_cmp_gt_f32_e32 vcc_lo, v0, v74
	v_cndmask_b32_e64 v0, 0, 1, s4
	v_cndmask_b32_e32 v101, v89, v94, vcc_lo
	v_cndmask_b32_e32 v7, v90, v95, vcc_lo
	;; [unrolled: 1-line block ×6, first 2 shown]
	v_cmp_eq_u32_e64 s8, 0, v101
	v_cndmask_b32_e32 v105, v76, v77, vcc_lo
	v_xor_b32_e32 v7, v7, v104
	v_and_b32_e32 v0, 1, v0
	v_cndmask_b32_e64 v1, v102, v103, s8
	v_cmp_eq_u32_e64 s8, 1, v0
	v_xor3_b32 v1, v7, v105, v1
	v_cndmask_b32_e64 v0, 0x7fc00000, v1, s8
	v_cndmask_b32_e32 v1, v91, v96, vcc_lo
	v_mul_f32_e32 v102, v16, v0
	v_mul_f32_e32 v101, v16, v1
.LBB0_152:                              ;   in Loop: Header=BB0_28 Depth=1
	s_or_b32 exec_lo, exec_lo, s15
	v_mov_b32_e32 v1, v102
	v_mov_b32_e32 v7, v101
.LBB0_153:                              ;   in Loop: Header=BB0_28 Depth=1
	s_or_b32 exec_lo, exec_lo, s14
	v_mov_b32_e32 v102, v1
	v_mov_b32_e32 v101, v7
.LBB0_154:                              ;   in Loop: Header=BB0_28 Depth=1
	s_or_b32 exec_lo, exec_lo, s9
                                        ; implicit-def: $vgpr0
.LBB0_155:                              ;   in Loop: Header=BB0_28 Depth=1
	s_andn2_saveexec_b32 s8, s13
	s_cbranch_execz .LBB0_173
; %bb.156:                              ;   in Loop: Header=BB0_28 Depth=1
	s_mov_b32 s9, exec_lo
                                        ; implicit-def: $vgpr102
                                        ; implicit-def: $vgpr101
	v_cmpx_lt_i32_e32 19, v0
	s_xor_b32 s9, exec_lo, s9
	s_cbranch_execz .LBB0_168
; %bb.157:                              ;   in Loop: Header=BB0_28 Depth=1
	s_mov_b32 s13, exec_lo
                                        ; implicit-def: $vgpr102
                                        ; implicit-def: $vgpr101
	v_cmpx_lt_i32_e32 20, v0
	s_xor_b32 s13, exec_lo, s13
	s_cbranch_execz .LBB0_165
; %bb.158:                              ;   in Loop: Header=BB0_28 Depth=1
	v_mov_b32_e32 v0, v79
	s_and_saveexec_b32 s14, s17
	s_cbranch_execz .LBB0_164
; %bb.159:                              ;   in Loop: Header=BB0_28 Depth=1
	v_mov_b32_e32 v1, v80
	v_mov_b32_e32 v0, v83
	s_and_saveexec_b32 s15, s5
	s_cbranch_execz .LBB0_163
; %bb.160:                              ;   in Loop: Header=BB0_28 Depth=1
	v_mov_b32_e32 v1, v80
	v_mov_b32_e32 v0, v83
	s_mov_b32 s18, 0
.LBB0_161:                              ;   Parent Loop BB0_28 Depth=1
                                        ; =>  This Inner Loop Header: Depth=2
	v_mul_f32_e32 v7, v84, v1
	v_rndne_f32_e32 v7, v7
	v_fma_f32 v1, -v7, v82, v1
	v_add_f32_e32 v7, v82, v1
	v_cmp_gt_f32_e32 vcc_lo, 0, v1
	v_cndmask_b32_e32 v1, v1, v7, vcc_lo
	v_cmp_gt_u32_e32 vcc_lo, 25, v0
	v_add_nc_u32_e32 v0, -12, v0
	v_ldexp_f32 v1, v1, 12
	s_or_b32 s18, vcc_lo, s18
	s_andn2_b32 exec_lo, exec_lo, s18
	s_cbranch_execnz .LBB0_161
; %bb.162:                              ;   in Loop: Header=BB0_28 Depth=1
	s_or_b32 exec_lo, exec_lo, s18
.LBB0_163:                              ;   in Loop: Header=BB0_28 Depth=1
	s_or_b32 exec_lo, exec_lo, s15
	v_add_nc_u32_e32 v0, -11, v0
	v_ldexp_f32 v0, v1, v0
	v_mul_f32_e32 v1, v84, v0
	v_rndne_f32_e32 v1, v1
	v_fma_f32 v0, -v1, v82, v0
	v_add_f32_e32 v1, v82, v0
	v_cmp_gt_f32_e32 vcc_lo, 0, v0
	v_cndmask_b32_e32 v0, v0, v1, vcc_lo
	v_ldexp_f32 v0, v0, v81
	v_xor_b32_e32 v0, v85, v0
.LBB0_164:                              ;   in Loop: Header=BB0_28 Depth=1
	s_or_b32 exec_lo, exec_lo, s14
	v_cndmask_b32_e64 v0, v0, 0x7fc00000, s6
	v_cndmask_b32_e64 v0, 0x7fc00000, v0, s7
	v_sub_f32_e32 v0, v0, v78
	v_add_f32_e32 v0, v86, v0
	v_mul_f32_e32 v101, v43, v0
	v_mul_f32_e32 v102, v44, v0
.LBB0_165:                              ;   in Loop: Header=BB0_28 Depth=1
	s_andn2_saveexec_b32 s13, s13
; %bb.166:                              ;   in Loop: Header=BB0_28 Depth=1
	v_mov_b32_e32 v102, v46
	v_mov_b32_e32 v101, v45
; %bb.167:                              ;   in Loop: Header=BB0_28 Depth=1
	s_or_b32 exec_lo, exec_lo, s13
                                        ; implicit-def: $vgpr0
.LBB0_168:                              ;   in Loop: Header=BB0_28 Depth=1
	s_andn2_saveexec_b32 s9, s9
	s_cbranch_execz .LBB0_172
; %bb.169:                              ;   in Loop: Header=BB0_28 Depth=1
	s_mov_b32 s13, exec_lo
	v_cmpx_lt_i32_e32 18, v0
	s_xor_b32 s13, exec_lo, s13
	s_or_saveexec_b32 s13, s13
	v_mov_b32_e32 v102, v48
	v_mov_b32_e32 v101, v47
	s_xor_b32 exec_lo, exec_lo, s13
; %bb.170:                              ;   in Loop: Header=BB0_28 Depth=1
	v_mov_b32_e32 v102, v50
	v_mov_b32_e32 v101, v49
; %bb.171:                              ;   in Loop: Header=BB0_28 Depth=1
	s_or_b32 exec_lo, exec_lo, s13
.LBB0_172:                              ;   in Loop: Header=BB0_28 Depth=1
	s_or_b32 exec_lo, exec_lo, s9
.LBB0_173:                              ;   in Loop: Header=BB0_28 Depth=1
	s_or_b32 exec_lo, exec_lo, s8
.LBB0_174:                              ;   in Loop: Header=BB0_28 Depth=1
	s_or_b32 exec_lo, exec_lo, s12
                                        ; implicit-def: $vgpr0
.LBB0_175:                              ;   in Loop: Header=BB0_28 Depth=1
	s_andn2_saveexec_b32 s11, s11
	s_cbranch_execz .LBB0_26
; %bb.176:                              ;   in Loop: Header=BB0_28 Depth=1
                                        ; implicit-def: $vgpr1
                                        ; implicit-def: $vgpr7
	s_mov_b32 s8, exec_lo
	v_cmpx_lt_i32_e32 8, v0
	s_xor_b32 s12, exec_lo, s8
	s_cbranch_execz .LBB0_220
; %bb.177:                              ;   in Loop: Header=BB0_28 Depth=1
                                        ; implicit-def: $vgpr1
                                        ; implicit-def: $vgpr7
	s_mov_b32 s8, exec_lo
	v_cmpx_lt_i32_e32 12, v0
	s_xor_b32 s13, exec_lo, s8
	s_cbranch_execz .LBB0_209
; %bb.178:                              ;   in Loop: Header=BB0_28 Depth=1
	s_mov_b32 s8, exec_lo
                                        ; implicit-def: $vgpr1
                                        ; implicit-def: $vgpr7
	v_cmpx_lt_i32_e32 14, v0
	s_xor_b32 s8, exec_lo, s8
	s_cbranch_execz .LBB0_186
; %bb.179:                              ;   in Loop: Header=BB0_28 Depth=1
	s_mov_b32 s9, exec_lo
                                        ; implicit-def: $vgpr1
                                        ; implicit-def: $vgpr7
	v_cmpx_lt_i32_e32 15, v0
	s_xor_b32 s9, exec_lo, s9
	s_cbranch_execz .LBB0_183
; %bb.180:                              ;   in Loop: Header=BB0_28 Depth=1
	s_mov_b32 s14, exec_lo
	v_cmpx_lt_i32_e32 16, v0
	s_xor_b32 s14, exec_lo, s14
	s_or_saveexec_b32 s14, s14
	v_mov_b32_e32 v1, v87
	v_mov_b32_e32 v7, v2
	s_xor_b32 exec_lo, exec_lo, s14
; %bb.181:                              ;   in Loop: Header=BB0_28 Depth=1
	v_mov_b32_e32 v1, v25
	v_mov_b32_e32 v7, v26
; %bb.182:                              ;   in Loop: Header=BB0_28 Depth=1
	s_or_b32 exec_lo, exec_lo, s14
.LBB0_183:                              ;   in Loop: Header=BB0_28 Depth=1
	s_andn2_saveexec_b32 s9, s9
; %bb.184:                              ;   in Loop: Header=BB0_28 Depth=1
	v_mov_b32_e32 v1, v99
	v_mov_b32_e32 v7, v97
; %bb.185:                              ;   in Loop: Header=BB0_28 Depth=1
	s_or_b32 exec_lo, exec_lo, s9
                                        ; implicit-def: $vgpr0
.LBB0_186:                              ;   in Loop: Header=BB0_28 Depth=1
	s_andn2_saveexec_b32 s14, s8
	s_cbranch_execz .LBB0_208
; %bb.187:                              ;   in Loop: Header=BB0_28 Depth=1
	s_mov_b32 s8, exec_lo
                                        ; implicit-def: $vgpr1
                                        ; implicit-def: $vgpr7
	v_cmpx_lt_i32_e32 13, v0
	s_xor_b32 s8, exec_lo, s8
	s_cbranch_execz .LBB0_197
; %bb.188:                              ;   in Loop: Header=BB0_28 Depth=1
	s_mov_b32 s9, exec_lo
                                        ; implicit-def: $vgpr1
	v_cmpx_lt_i32_e32 1, v27
	s_xor_b32 s9, exec_lo, s9
	s_cbranch_execz .LBB0_192
; %bb.189:                              ;   in Loop: Header=BB0_28 Depth=1
	v_mov_b32_e32 v1, v3
	s_mov_b32 s15, exec_lo
	v_cmpx_gt_i32_e32 3, v27
; %bb.190:                              ;   in Loop: Header=BB0_28 Depth=1
	v_mov_b32_e32 v1, v29
; %bb.191:                              ;   in Loop: Header=BB0_28 Depth=1
	s_or_b32 exec_lo, exec_lo, s15
.LBB0_192:                              ;   in Loop: Header=BB0_28 Depth=1
	s_or_saveexec_b32 s9, s9
	v_mov_b32_e32 v7, v15
	s_xor_b32 exec_lo, exec_lo, s9
	s_cbranch_execz .LBB0_196
; %bb.193:                              ;   in Loop: Header=BB0_28 Depth=1
	s_mov_b32 s15, exec_lo
	v_cmpx_ne_u32_e32 1, v27
	s_xor_b32 s15, exec_lo, s15
	s_or_saveexec_b32 s15, s15
	v_mov_b32_e32 v1, v29
	s_xor_b32 exec_lo, exec_lo, s15
; %bb.194:                              ;   in Loop: Header=BB0_28 Depth=1
	v_mov_b32_e32 v1, v3
; %bb.195:                              ;   in Loop: Header=BB0_28 Depth=1
	s_or_b32 exec_lo, exec_lo, s15
	v_mov_b32_e32 v7, v28
.LBB0_196:                              ;   in Loop: Header=BB0_28 Depth=1
	s_or_b32 exec_lo, exec_lo, s9
.LBB0_197:                              ;   in Loop: Header=BB0_28 Depth=1
	s_andn2_saveexec_b32 s15, s8
	s_cbranch_execz .LBB0_207
; %bb.198:                              ;   in Loop: Header=BB0_28 Depth=1
	global_load_dword v0, v[9:10], off
                                        ; implicit-def: $vgpr102
                                        ; implicit-def: $vgpr101
	s_waitcnt vmcnt(0)
	v_cmp_lt_f32_e32 vcc_lo, 0.5, v0
	v_cndmask_b32_e64 v0, 0x40490fdb, 0, vcc_lo
	v_add_f32_e32 v0, v31, v0
	v_and_b32_e32 v1, 0x7fffffff, v0
	v_cmp_ngt_f32_e64 s18, 0x48000000, |v0|
	v_lshrrev_b32_e32 v7, 23, v1
	v_and_or_b32 v103, v1, s33, 0x800000
	v_add_nc_u32_e32 v104, 0xffffff88, v7
	s_and_saveexec_b32 s8, s18
	s_xor_b32 s19, exec_lo, s8
	s_cbranch_execz .LBB0_200
; %bb.199:                              ;   in Loop: Header=BB0_28 Depth=1
	v_mad_u64_u32 v[101:102], null, 0xfe5163ab, v103, 0
	v_cmp_lt_u32_e32 vcc_lo, 63, v104
	v_mov_b32_e32 v7, v102
	v_cndmask_b32_e64 v102, 0, 0xffffffc0, vcc_lo
	v_mad_u64_u32 v[105:106], null, 0x3c439041, v103, v[7:8]
	v_add_nc_u32_e32 v102, v102, v104
	v_cmp_lt_u32_e64 s8, 31, v102
	v_mov_b32_e32 v7, v106
	v_cndmask_b32_e64 v111, 0, 0xffffffe0, s8
	v_mad_u64_u32 v[106:107], null, 0xdb629599, v103, v[7:8]
	v_add_nc_u32_e32 v102, v111, v102
	v_mov_b32_e32 v7, v107
	v_cmp_lt_u32_e64 s9, 31, v102
	v_cndmask_b32_e32 v101, v106, v101, vcc_lo
	v_mad_u64_u32 v[107:108], null, 0xf534ddc0, v103, v[7:8]
	v_mov_b32_e32 v7, v108
	v_mad_u64_u32 v[108:109], null, 0xfc2757d1, v103, v[7:8]
	v_mov_b32_e32 v7, v109
	;; [unrolled: 2-line block ×3, first 2 shown]
	v_cndmask_b32_e32 v112, v109, v107, vcc_lo
	v_mad_u64_u32 v[110:111], null, 0xa2f9836e, v103, v[7:8]
	v_cndmask_b32_e64 v7, 0, 0xffffffe0, s9
	v_add_nc_u32_e32 v7, v7, v102
	v_cndmask_b32_e32 v110, v110, v108, vcc_lo
	v_cndmask_b32_e32 v109, v111, v109, vcc_lo
	;; [unrolled: 1-line block ×4, first 2 shown]
	v_cmp_eq_u32_e32 vcc_lo, 0, v7
	v_cndmask_b32_e64 v105, v110, v112, s8
	v_cndmask_b32_e64 v107, v109, v110, s8
	;; [unrolled: 1-line block ×3, first 2 shown]
	v_sub_nc_u32_e32 v110, 32, v7
	v_cndmask_b32_e64 v108, v108, v102, s8
	v_cndmask_b32_e64 v101, v102, v101, s8
	v_cndmask_b32_e64 v107, v107, v105, s9
	v_cndmask_b32_e64 v105, v105, v109, s9
	v_cndmask_b32_e64 v109, v109, v108, s9
	v_cndmask_b32_e64 v101, v108, v101, s9
	v_alignbit_b32 v111, v107, v105, v110
	v_alignbit_b32 v106, v105, v109, v110
	;; [unrolled: 1-line block ×3, first 2 shown]
	v_cndmask_b32_e32 v7, v111, v107, vcc_lo
	v_cndmask_b32_e32 v102, v106, v105, vcc_lo
	;; [unrolled: 1-line block ×3, first 2 shown]
	v_bfe_u32 v105, v7, 29, 1
	v_alignbit_b32 v106, v7, v102, 30
	v_alignbit_b32 v102, v102, v108, 30
	;; [unrolled: 1-line block ×3, first 2 shown]
	v_sub_nc_u32_e32 v107, 0, v105
	v_xor_b32_e32 v106, v106, v107
	v_xor_b32_e32 v102, v102, v107
	v_xor_b32_e32 v101, v101, v107
	v_lshrrev_b32_e32 v107, 29, v7
	v_lshrrev_b32_e32 v7, 30, v7
	v_ffbh_u32_e32 v109, v106
	v_min_u32_e32 v109, 32, v109
	v_sub_nc_u32_e32 v108, 31, v109
	v_lshlrev_b32_e32 v110, 23, v109
	v_alignbit_b32 v106, v106, v102, v108
	v_alignbit_b32 v101, v102, v101, v108
	v_lshlrev_b32_e32 v102, 31, v107
	v_alignbit_b32 v107, v106, v101, 9
	v_or_b32_e32 v108, 0.5, v102
	v_lshrrev_b32_e32 v106, 9, v106
	v_or_b32_e32 v102, 0x33000000, v102
	v_ffbh_u32_e32 v111, v107
	v_sub_nc_u32_e32 v108, v108, v110
	v_min_u32_e32 v110, 32, v111
	v_or_b32_e32 v106, v106, v108
	v_not_b32_e32 v108, v110
	v_mul_f32_e32 v111, 0x3fc90fda, v106
	v_add_lshl_u32 v109, v110, v109, 23
	v_alignbit_b32 v101, v107, v101, v108
	v_fma_f32 v107, 0x3fc90fda, v106, -v111
	v_sub_nc_u32_e32 v102, v102, v109
	v_lshrrev_b32_e32 v101, 9, v101
	v_fmac_f32_e32 v107, 0x33a22168, v106
	v_or_b32_e32 v101, v102, v101
	v_add_nc_u32_e32 v102, v105, v7
	v_fmac_f32_e32 v107, 0x3fc90fda, v101
	v_add_f32_e32 v101, v111, v107
.LBB0_200:                              ;   in Loop: Header=BB0_28 Depth=1
	s_or_saveexec_b32 s8, s19
	v_mul_f32_e64 v7, 0x3f22f983, |v0|
	v_rndne_f32_e32 v106, v7
	s_xor_b32 exec_lo, exec_lo, s8
; %bb.201:                              ;   in Loop: Header=BB0_28 Depth=1
	v_fma_f32 v101, 0xbfc90fda, v106, |v0|
	v_cvt_i32_f32_e32 v102, v106
	v_fmac_f32_e32 v101, 0xb3a22168, v106
	v_fmac_f32_e32 v101, 0xa7c234c4, v106
; %bb.202:                              ;   in Loop: Header=BB0_28 Depth=1
	s_or_b32 exec_lo, exec_lo, s8
                                        ; implicit-def: $vgpr105
                                        ; implicit-def: $vgpr7
	s_and_saveexec_b32 s8, s18
	s_xor_b32 s18, exec_lo, s8
	s_cbranch_execz .LBB0_204
; %bb.203:                              ;   in Loop: Header=BB0_28 Depth=1
	v_mad_u64_u32 v[105:106], null, 0xfe5163ab, v103, 0
	v_cmp_lt_u32_e32 vcc_lo, 63, v104
	v_cndmask_b32_e64 v111, 0, 0xffffffc0, vcc_lo
	v_mov_b32_e32 v7, v106
	v_add_nc_u32_e32 v104, v111, v104
	v_mad_u64_u32 v[106:107], null, 0x3c439041, v103, v[7:8]
	v_cmp_lt_u32_e64 s8, 31, v104
	v_mov_b32_e32 v7, v107
	v_cndmask_b32_e64 v112, 0, 0xffffffe0, s8
	v_mad_u64_u32 v[107:108], null, 0xdb629599, v103, v[7:8]
	v_mov_b32_e32 v7, v108
	v_cndmask_b32_e32 v105, v107, v105, vcc_lo
	v_mad_u64_u32 v[108:109], null, 0xf534ddc0, v103, v[7:8]
	v_mov_b32_e32 v7, v109
	v_cndmask_b32_e32 v106, v108, v106, vcc_lo
	v_mad_u64_u32 v[109:110], null, 0xfc2757d1, v103, v[7:8]
	v_mov_b32_e32 v7, v110
	v_mad_u64_u32 v[110:111], null, 0x4e441529, v103, v[7:8]
	v_mov_b32_e32 v7, v111
	v_add_nc_u32_e32 v111, v112, v104
	v_cndmask_b32_e32 v112, v110, v108, vcc_lo
	v_mad_u64_u32 v[103:104], null, 0xa2f9836e, v103, v[7:8]
	v_cmp_lt_u32_e64 s9, 31, v111
	v_cndmask_b32_e64 v7, 0, 0xffffffe0, s9
	v_cndmask_b32_e32 v103, v103, v109, vcc_lo
	v_cndmask_b32_e32 v104, v104, v110, vcc_lo
	;; [unrolled: 1-line block ×3, first 2 shown]
	v_add_nc_u32_e32 v7, v7, v111
	v_cndmask_b32_e64 v108, v103, v112, s8
	v_cndmask_b32_e64 v103, v104, v103, s8
	;; [unrolled: 1-line block ×4, first 2 shown]
	v_sub_nc_u32_e32 v110, 32, v7
	v_cmp_eq_u32_e32 vcc_lo, 0, v7
	v_cndmask_b32_e64 v103, v103, v108, s9
	v_cndmask_b32_e64 v108, v108, v104, s9
	;; [unrolled: 1-line block ×3, first 2 shown]
	v_alignbit_b32 v111, v103, v108, v110
	v_alignbit_b32 v107, v108, v104, v110
	v_cndmask_b32_e32 v7, v111, v103, vcc_lo
	v_cndmask_b32_e64 v103, v106, v105, s8
	v_cndmask_b32_e32 v105, v107, v108, vcc_lo
	v_bfe_u32 v106, v7, 29, 1
	v_cndmask_b32_e64 v103, v109, v103, s9
	v_alignbit_b32 v107, v7, v105, 30
	v_sub_nc_u32_e32 v108, 0, v106
	v_alignbit_b32 v109, v104, v103, v110
	v_xor_b32_e32 v107, v107, v108
	v_cndmask_b32_e32 v104, v109, v104, vcc_lo
	v_ffbh_u32_e32 v109, v107
	v_alignbit_b32 v105, v105, v104, 30
	v_alignbit_b32 v103, v104, v103, 30
	v_min_u32_e32 v109, 32, v109
	v_xor_b32_e32 v104, v105, v108
	v_xor_b32_e32 v103, v103, v108
	v_lshrrev_b32_e32 v108, 29, v7
	v_sub_nc_u32_e32 v105, 31, v109
	v_lshlrev_b32_e32 v110, 23, v109
	v_alignbit_b32 v107, v107, v104, v105
	v_alignbit_b32 v103, v104, v103, v105
	v_lshlrev_b32_e32 v104, 31, v108
	v_alignbit_b32 v105, v107, v103, 9
	v_or_b32_e32 v108, 0.5, v104
	v_lshrrev_b32_e32 v107, 9, v107
	v_or_b32_e32 v104, 0x33000000, v104
	v_ffbh_u32_e32 v111, v105
	v_sub_nc_u32_e32 v108, v108, v110
	v_min_u32_e32 v110, 32, v111
	v_or_b32_e32 v107, v107, v108
	v_not_b32_e32 v108, v110
	v_mul_f32_e32 v111, 0x3fc90fda, v107
	v_add_lshl_u32 v109, v110, v109, 23
	v_alignbit_b32 v103, v105, v103, v108
	v_fma_f32 v105, 0x3fc90fda, v107, -v111
	v_sub_nc_u32_e32 v104, v104, v109
	v_lshrrev_b32_e32 v103, 9, v103
	v_fmac_f32_e32 v105, 0x33a22168, v107
	v_or_b32_e32 v103, v104, v103
	v_fmac_f32_e32 v105, 0x3fc90fda, v103
	v_lshrrev_b32_e32 v103, 30, v7
	v_add_f32_e32 v7, v111, v105
	v_add_nc_u32_e32 v105, v106, v103
                                        ; implicit-def: $vgpr106
	s_andn2_saveexec_b32 s8, s18
	s_cbranch_execnz .LBB0_205
	s_branch .LBB0_206
.LBB0_204:                              ;   in Loop: Header=BB0_28 Depth=1
	s_andn2_saveexec_b32 s8, s18
.LBB0_205:                              ;   in Loop: Header=BB0_28 Depth=1
	v_fma_f32 v7, 0xbfc90fda, v106, |v0|
	v_cvt_i32_f32_e32 v105, v106
	v_fmac_f32_e32 v7, 0xb3a22168, v106
	v_fmac_f32_e32 v7, 0xa7c234c4, v106
.LBB0_206:                              ;   in Loop: Header=BB0_28 Depth=1
	s_or_b32 exec_lo, exec_lo, s8
	v_mul_f32_e32 v103, v101, v101
	v_mul_f32_e32 v106, v7, v7
	v_and_b32_e32 v104, 1, v102
	v_and_b32_e32 v109, 1, v105
	v_lshlrev_b32_e32 v102, 30, v102
	v_fmaak_f32 v107, s27, v103, 0x3c0881c4
	v_fmaak_f32 v108, s38, v103, 0xbab64f3b
	;; [unrolled: 1-line block ×4, first 2 shown]
	v_cmp_eq_u32_e32 vcc_lo, 0, v104
	v_fmaak_f32 v107, v103, v107, 0xbe2aaa9d
	v_fmaak_f32 v108, v103, v108, 0x3d2aabf7
	;; [unrolled: 1-line block ×4, first 2 shown]
	v_lshlrev_b32_e32 v105, 30, v105
	v_mul_f32_e32 v107, v103, v107
	v_fmaak_f32 v108, v103, v108, 0xbf000004
	v_mul_f32_e32 v110, v106, v110
	v_fmaak_f32 v111, v106, v111, 0xbf000004
	v_and_b32_e32 v102, 0x80000000, v102
	v_fmac_f32_e32 v101, v101, v107
	v_fma_f32 v103, v103, v108, 1.0
	v_fmac_f32_e32 v7, v7, v110
	v_fma_f32 v106, v106, v111, 1.0
	v_and_b32_e32 v105, 0x80000000, v105
	v_xor_b32_e32 v1, v1, v0
	v_cndmask_b32_e64 v101, -v101, v103, vcc_lo
	v_cmp_eq_u32_e32 vcc_lo, 0, v109
	v_xor_b32_e32 v101, v102, v101
	v_cndmask_b32_e32 v7, v106, v7, vcc_lo
	v_cmp_class_f32_e64 vcc_lo, v0, 0x1f8
	v_xor3_b32 v1, v1, v105, v7
	v_cndmask_b32_e32 v0, 0x7fc00000, v101, vcc_lo
	v_cndmask_b32_e32 v1, 0x7fc00000, v1, vcc_lo
	v_mul_f32_e32 v7, v30, v0
	v_mul_f32_e32 v1, v30, v1
.LBB0_207:                              ;   in Loop: Header=BB0_28 Depth=1
	s_or_b32 exec_lo, exec_lo, s15
.LBB0_208:                              ;   in Loop: Header=BB0_28 Depth=1
	s_or_b32 exec_lo, exec_lo, s14
                                        ; implicit-def: $vgpr0
.LBB0_209:                              ;   in Loop: Header=BB0_28 Depth=1
	s_andn2_saveexec_b32 s8, s13
	s_cbranch_execz .LBB0_219
; %bb.210:                              ;   in Loop: Header=BB0_28 Depth=1
	s_mov_b32 s9, exec_lo
                                        ; implicit-def: $vgpr1
                                        ; implicit-def: $vgpr7
	v_cmpx_lt_i32_e32 10, v0
	s_xor_b32 s9, exec_lo, s9
	s_cbranch_execz .LBB0_214
; %bb.211:                              ;   in Loop: Header=BB0_28 Depth=1
	s_mov_b32 s13, exec_lo
	v_cmpx_lt_i32_e32 11, v0
	s_xor_b32 s13, exec_lo, s13
	s_or_saveexec_b32 s13, s13
	v_mov_b32_e32 v1, v52
	v_mov_b32_e32 v7, v51
	s_xor_b32 exec_lo, exec_lo, s13
; %bb.212:                              ;   in Loop: Header=BB0_28 Depth=1
	v_mov_b32_e32 v1, v54
	v_mov_b32_e32 v7, v53
; %bb.213:                              ;   in Loop: Header=BB0_28 Depth=1
	s_or_b32 exec_lo, exec_lo, s13
                                        ; implicit-def: $vgpr0
.LBB0_214:                              ;   in Loop: Header=BB0_28 Depth=1
	s_andn2_saveexec_b32 s9, s9
	s_cbranch_execz .LBB0_218
; %bb.215:                              ;   in Loop: Header=BB0_28 Depth=1
	s_mov_b32 s13, exec_lo
	v_cmpx_lt_i32_e32 9, v0
	s_xor_b32 s13, exec_lo, s13
	s_or_saveexec_b32 s13, s13
	v_mov_b32_e32 v1, v56
	v_mov_b32_e32 v7, v55
	s_xor_b32 exec_lo, exec_lo, s13
; %bb.216:                              ;   in Loop: Header=BB0_28 Depth=1
	v_mov_b32_e32 v1, v58
	v_mov_b32_e32 v7, v57
; %bb.217:                              ;   in Loop: Header=BB0_28 Depth=1
	s_or_b32 exec_lo, exec_lo, s13
.LBB0_218:                              ;   in Loop: Header=BB0_28 Depth=1
	s_or_b32 exec_lo, exec_lo, s9
.LBB0_219:                              ;   in Loop: Header=BB0_28 Depth=1
	s_or_b32 exec_lo, exec_lo, s8
                                        ; implicit-def: $vgpr0
                                        ; implicit-def: $vgpr102
                                        ; implicit-def: $vgpr101
.LBB0_220:                              ;   in Loop: Header=BB0_28 Depth=1
	s_andn2_saveexec_b32 s8, s12
	s_cbranch_execz .LBB0_25
; %bb.221:                              ;   in Loop: Header=BB0_28 Depth=1
	s_mov_b32 s9, exec_lo
                                        ; implicit-def: $vgpr1
                                        ; implicit-def: $vgpr7
	v_cmpx_lt_i32_e32 3, v0
	s_xor_b32 s9, exec_lo, s9
	s_cbranch_execz .LBB0_235
; %bb.222:                              ;   in Loop: Header=BB0_28 Depth=1
	s_mov_b32 s12, exec_lo
                                        ; implicit-def: $vgpr1
                                        ; implicit-def: $vgpr7
	v_cmpx_lt_i32_e32 5, v0
	s_xor_b32 s12, exec_lo, s12
	;; [unrolled: 7-line block ×3, first 2 shown]
	s_cbranch_execz .LBB0_227
; %bb.224:                              ;   in Loop: Header=BB0_28 Depth=1
	s_mov_b32 s14, exec_lo
	v_cmpx_lt_i32_e32 7, v0
	s_xor_b32 s14, exec_lo, s14
	s_or_saveexec_b32 s14, s14
	v_mov_b32_e32 v1, v60
	v_mov_b32_e32 v7, v59
	s_xor_b32 exec_lo, exec_lo, s14
; %bb.225:                              ;   in Loop: Header=BB0_28 Depth=1
	v_mov_b32_e32 v1, v62
	v_mov_b32_e32 v7, v61
; %bb.226:                              ;   in Loop: Header=BB0_28 Depth=1
	s_or_b32 exec_lo, exec_lo, s14
.LBB0_227:                              ;   in Loop: Header=BB0_28 Depth=1
	s_andn2_saveexec_b32 s13, s13
; %bb.228:                              ;   in Loop: Header=BB0_28 Depth=1
	v_mov_b32_e32 v1, v64
	v_mov_b32_e32 v7, v63
; %bb.229:                              ;   in Loop: Header=BB0_28 Depth=1
	s_or_b32 exec_lo, exec_lo, s13
                                        ; implicit-def: $vgpr0
.LBB0_230:                              ;   in Loop: Header=BB0_28 Depth=1
	s_andn2_saveexec_b32 s12, s12
	s_cbranch_execz .LBB0_234
; %bb.231:                              ;   in Loop: Header=BB0_28 Depth=1
	s_mov_b32 s13, exec_lo
	v_cmpx_lt_i32_e32 4, v0
	s_xor_b32 s13, exec_lo, s13
	s_or_saveexec_b32 s13, s13
	v_mov_b32_e32 v1, v33
	v_mov_b32_e32 v7, v32
	s_xor_b32 exec_lo, exec_lo, s13
; %bb.232:                              ;   in Loop: Header=BB0_28 Depth=1
	v_mov_b32_e32 v1, v35
	v_mov_b32_e32 v7, v34
; %bb.233:                              ;   in Loop: Header=BB0_28 Depth=1
	s_or_b32 exec_lo, exec_lo, s13
.LBB0_234:                              ;   in Loop: Header=BB0_28 Depth=1
	s_or_b32 exec_lo, exec_lo, s12
                                        ; implicit-def: $vgpr0
                                        ; implicit-def: $vgpr102
                                        ; implicit-def: $vgpr101
.LBB0_235:                              ;   in Loop: Header=BB0_28 Depth=1
	s_andn2_saveexec_b32 s9, s9
	s_cbranch_execz .LBB0_24
; %bb.236:                              ;   in Loop: Header=BB0_28 Depth=1
	s_mov_b32 s12, exec_lo
                                        ; implicit-def: $vgpr1
                                        ; implicit-def: $vgpr7
	v_cmpx_lt_i32_e32 1, v0
	s_xor_b32 s12, exec_lo, s12
	s_cbranch_execz .LBB0_240
; %bb.237:                              ;   in Loop: Header=BB0_28 Depth=1
	s_mov_b32 s13, exec_lo
	v_cmpx_lt_i32_e32 2, v0
	s_xor_b32 s13, exec_lo, s13
	s_or_saveexec_b32 s13, s13
	v_mov_b32_e32 v1, v66
	v_mov_b32_e32 v7, v65
	s_xor_b32 exec_lo, exec_lo, s13
; %bb.238:                              ;   in Loop: Header=BB0_28 Depth=1
	v_mov_b32_e32 v1, v37
	v_mov_b32_e32 v7, v36
; %bb.239:                              ;   in Loop: Header=BB0_28 Depth=1
	s_or_b32 exec_lo, exec_lo, s13
                                        ; implicit-def: $vgpr102
                                        ; implicit-def: $vgpr101
                                        ; implicit-def: $vgpr0
.LBB0_240:                              ;   in Loop: Header=BB0_28 Depth=1
	s_andn2_saveexec_b32 s12, s12
	s_cbranch_execz .LBB0_23
; %bb.241:                              ;   in Loop: Header=BB0_28 Depth=1
	s_mov_b32 s13, exec_lo
	v_cmpx_lt_i32_e32 0, v0
	s_xor_b32 s13, exec_lo, s13
; %bb.242:                              ;   in Loop: Header=BB0_28 Depth=1
                                        ; implicit-def: $vgpr102
                                        ; implicit-def: $vgpr101
                                        ; implicit-def: $vgpr0
; %bb.243:                              ;   in Loop: Header=BB0_28 Depth=1
	s_or_saveexec_b32 s13, s13
	v_mov_b32_e32 v1, v42
	v_mov_b32_e32 v7, v38
	s_xor_b32 exec_lo, exec_lo, s13
	s_cbranch_execz .LBB0_22
; %bb.244:                              ;   in Loop: Header=BB0_28 Depth=1
	s_mov_b32 s14, exec_lo
	v_cmpx_eq_u32_e32 0, v0
	s_cbranch_execz .LBB0_21
; %bb.245:                              ;   in Loop: Header=BB0_28 Depth=1
	v_mov_b32_e32 v102, v3
	v_mov_b32_e32 v101, v15
	s_branch .LBB0_21
.LBB0_246:
	v_lshlrev_b64 v[0:1], 2, v[5:6]
	s_mov_b32 s0, 0.5
	v_add_co_u32 v6, vcc_lo, s34, v0
	v_add_co_ci_u32_e64 v7, null, s35, v1, vcc_lo
	v_mad_u64_u32 v[8:9], null, v5, 20, v[6:7]
	v_ashrrev_i32_e32 v5, 31, v4
	s_clause 0x2
	global_load_dwordx4 v[0:3], v[8:9], off offset:1360
	global_load_dwordx2 v[8:9], v[8:9], off offset:1376
	global_load_dword v6, v[6:7], off offset:800
	s_waitcnt vmcnt(2)
	v_mul_f32_e32 v1, v98, v1
	s_waitcnt vmcnt(1)
	v_mul_f32_e32 v7, v98, v8
	s_waitcnt vmcnt(0)
	v_add_f32_e32 v6, 0.5, v6
	v_fmac_f32_e32 v1, v13, v0
	v_fmac_f32_e32 v7, v13, v3
	v_add_f32_e32 v8, v2, v1
	v_add_f32_e32 v7, v9, v7
	v_lshlrev_b64 v[0:1], 1, v[4:5]
	v_lshlrev_b64 v[2:3], 2, v[4:5]
	v_fma_mixlo_f16 v4, v6, s0, 0
	v_cvt_f16_f32_e32 v5, v8
	v_cvt_f16_f32_e32 v6, v7
	v_add_co_u32 v0, vcc_lo, s30, v0
	v_cvt_i16_f16_e32 v5, v5
	v_cvt_i16_f16_e32 v6, v6
	v_add_co_ci_u32_e64 v1, null, s31, v1, vcc_lo
	v_add_co_u32 v2, vcc_lo, s28, v2
	v_cvt_i16_f16_e32 v4, v4
	v_add_co_ci_u32_e64 v3, null, s29, v3, vcc_lo
	v_perm_b32 v5, v6, v5, 0x5040100
	global_store_short v[0:1], v4, off
	global_store_dword v[2:3], v5, off
	s_endpgm
	.section	.rodata,"a",@progbits
	.p2align	6, 0x0
	.amdhsa_kernel _Z17kernel_initializeP15HIP_vector_typeIsLj2EEPsPKtiPS_IfLj2EEPKf14ConstMemParams
		.amdhsa_group_segment_fixed_size 0
		.amdhsa_private_segment_fixed_size 0
		.amdhsa_kernarg_size 2232
		.amdhsa_user_sgpr_count 6
		.amdhsa_user_sgpr_private_segment_buffer 1
		.amdhsa_user_sgpr_dispatch_ptr 0
		.amdhsa_user_sgpr_queue_ptr 0
		.amdhsa_user_sgpr_kernarg_segment_ptr 1
		.amdhsa_user_sgpr_dispatch_id 0
		.amdhsa_user_sgpr_flat_scratch_init 0
		.amdhsa_user_sgpr_private_segment_size 0
		.amdhsa_wavefront_size32 1
		.amdhsa_uses_dynamic_stack 0
		.amdhsa_system_sgpr_private_segment_wavefront_offset 0
		.amdhsa_system_sgpr_workgroup_id_x 1
		.amdhsa_system_sgpr_workgroup_id_y 0
		.amdhsa_system_sgpr_workgroup_id_z 0
		.amdhsa_system_sgpr_workgroup_info 0
		.amdhsa_system_vgpr_workitem_id 0
		.amdhsa_next_free_vgpr 121
		.amdhsa_next_free_sgpr 41
		.amdhsa_reserve_vcc 1
		.amdhsa_reserve_flat_scratch 0
		.amdhsa_float_round_mode_32 0
		.amdhsa_float_round_mode_16_64 0
		.amdhsa_float_denorm_mode_32 3
		.amdhsa_float_denorm_mode_16_64 3
		.amdhsa_dx10_clamp 1
		.amdhsa_ieee_mode 1
		.amdhsa_fp16_overflow 0
		.amdhsa_workgroup_processor_mode 1
		.amdhsa_memory_ordered 1
		.amdhsa_forward_progress 1
		.amdhsa_shared_vgpr_count 0
		.amdhsa_exception_fp_ieee_invalid_op 0
		.amdhsa_exception_fp_denorm_src 0
		.amdhsa_exception_fp_ieee_div_zero 0
		.amdhsa_exception_fp_ieee_overflow 0
		.amdhsa_exception_fp_ieee_underflow 0
		.amdhsa_exception_fp_ieee_inexact 0
		.amdhsa_exception_int_div_zero 0
	.end_amdhsa_kernel
	.text
.Lfunc_end0:
	.size	_Z17kernel_initializeP15HIP_vector_typeIsLj2EEPsPKtiPS_IfLj2EEPKf14ConstMemParams, .Lfunc_end0-_Z17kernel_initializeP15HIP_vector_typeIsLj2EEPsPKtiPS_IfLj2EEPKf14ConstMemParams
                                        ; -- End function
	.set _Z17kernel_initializeP15HIP_vector_typeIsLj2EEPsPKtiPS_IfLj2EEPKf14ConstMemParams.num_vgpr, 121
	.set _Z17kernel_initializeP15HIP_vector_typeIsLj2EEPsPKtiPS_IfLj2EEPKf14ConstMemParams.num_agpr, 0
	.set _Z17kernel_initializeP15HIP_vector_typeIsLj2EEPsPKtiPS_IfLj2EEPKf14ConstMemParams.numbered_sgpr, 41
	.set _Z17kernel_initializeP15HIP_vector_typeIsLj2EEPsPKtiPS_IfLj2EEPKf14ConstMemParams.num_named_barrier, 0
	.set _Z17kernel_initializeP15HIP_vector_typeIsLj2EEPsPKtiPS_IfLj2EEPKf14ConstMemParams.private_seg_size, 0
	.set _Z17kernel_initializeP15HIP_vector_typeIsLj2EEPsPKtiPS_IfLj2EEPKf14ConstMemParams.uses_vcc, 1
	.set _Z17kernel_initializeP15HIP_vector_typeIsLj2EEPsPKtiPS_IfLj2EEPKf14ConstMemParams.uses_flat_scratch, 0
	.set _Z17kernel_initializeP15HIP_vector_typeIsLj2EEPsPKtiPS_IfLj2EEPKf14ConstMemParams.has_dyn_sized_stack, 0
	.set _Z17kernel_initializeP15HIP_vector_typeIsLj2EEPsPKtiPS_IfLj2EEPKf14ConstMemParams.has_recursion, 0
	.set _Z17kernel_initializeP15HIP_vector_typeIsLj2EEPsPKtiPS_IfLj2EEPKf14ConstMemParams.has_indirect_call, 0
	.section	.AMDGPU.csdata,"",@progbits
; Kernel info:
; codeLenInByte = 35612
; TotalNumSgprs: 43
; NumVgprs: 121
; ScratchSize: 0
; MemoryBound: 0
; FloatMode: 240
; IeeeMode: 1
; LDSByteSize: 0 bytes/workgroup (compile time only)
; SGPRBlocks: 0
; VGPRBlocks: 15
; NumSGPRsForWavesPerEU: 43
; NumVGPRsForWavesPerEU: 121
; Occupancy: 8
; WaveLimiterHint : 0
; COMPUTE_PGM_RSRC2:SCRATCH_EN: 0
; COMPUTE_PGM_RSRC2:USER_SGPR: 6
; COMPUTE_PGM_RSRC2:TRAP_HANDLER: 0
; COMPUTE_PGM_RSRC2:TGID_X_EN: 1
; COMPUTE_PGM_RSRC2:TGID_Y_EN: 0
; COMPUTE_PGM_RSRC2:TGID_Z_EN: 0
; COMPUTE_PGM_RSRC2:TIDIG_COMP_CNT: 0
	.text
	.protected	_Z14kernel_iterateP15HIP_vector_typeIsLj2EEPsPKtiPKf14ConstMemParams ; -- Begin function _Z14kernel_iterateP15HIP_vector_typeIsLj2EEPsPKtiPKf14ConstMemParams
	.globl	_Z14kernel_iterateP15HIP_vector_typeIsLj2EEPsPKtiPKf14ConstMemParams
	.p2align	8
	.type	_Z14kernel_iterateP15HIP_vector_typeIsLj2EEPsPKtiPKf14ConstMemParams,@function
_Z14kernel_iterateP15HIP_vector_typeIsLj2EEPsPKtiPKf14ConstMemParams: ; @_Z14kernel_iterateP15HIP_vector_typeIsLj2EEPsPKtiPKf14ConstMemParams
; %bb.0:
	s_clause 0x1
	s_load_dword s0, s[4:5], 0x7bc
	s_load_dword s1, s[4:5], 0x788
	s_add_u32 s28, s4, 40
	s_addc_u32 s29, s5, 0
	s_load_dword s2, s[4:5], 0x18
	s_waitcnt lgkmcnt(0)
	s_and_b32 s0, s0, 0xffff
	v_mad_u64_u32 v[10:11], null, s6, s0, v[0:1]
	s_load_dword s6, s[4:5], 0x75c
	v_and_b32_e32 v6, 0xffffffe0, v10
	v_cmp_gt_i32_e32 vcc_lo, s1, v6
	s_load_dwordx2 s[0:1], s[4:5], 0x10
	v_cndmask_b32_e64 v1, 15, 5, vcc_lo
	v_cndmask_b32_e64 v0, 11, 0, vcc_lo
	;; [unrolled: 1-line block ×3, first 2 shown]
	v_lshlrev_b32_e32 v2, 2, v1
	v_add_nc_u32_e32 v4, 1, v1
	global_load_dword v2, v2, s[28:29] offset:1848
	s_waitcnt vmcnt(0)
	v_cmp_gt_i32_e32 vcc_lo, v2, v6
	v_cndmask_b32_e32 v0, v4, v0, vcc_lo
	v_cndmask_b32_e32 v1, v3, v1, vcc_lo
	v_add_nc_u16 v2, v0, v1
	v_lshrrev_b16 v2, 1, v2
	v_and_b32_e32 v2, 0xffff, v2
	v_lshlrev_b32_e32 v3, 2, v2
	v_add_nc_u32_e32 v4, 1, v2
	global_load_dword v3, v3, s[28:29] offset:1848
	s_waitcnt lgkmcnt(0)
	s_cmp_lt_i32 s6, 2
	s_waitcnt vmcnt(0)
	v_cmp_gt_i32_e32 vcc_lo, v3, v6
	v_cndmask_b32_e32 v3, v4, v0, vcc_lo
	v_cndmask_b32_e32 v2, v1, v2, vcc_lo
	v_add_nc_u32_e32 v0, v3, v2
	v_lshrrev_b32_e32 v4, 1, v0
	v_lshlrev_b32_e32 v0, 2, v4
	global_load_dword v5, v0, s[28:29] offset:1848
	v_lshl_add_u32 v0, s2, 14, v10
	v_ashrrev_i32_e32 v1, 31, v0
	v_lshlrev_b64 v[0:1], 1, v[0:1]
	v_add_co_u32 v0, vcc_lo, s0, v0
	v_add_co_ci_u32_e64 v1, null, s1, v1, vcc_lo
	global_load_ushort v7, v[0:1], off
	v_add_nc_u32_e32 v0, 1, v4
	s_waitcnt vmcnt(1)
	v_cmp_gt_i32_e32 vcc_lo, v5, v6
	v_cndmask_b32_e32 v8, v0, v3, vcc_lo
	v_cndmask_b32_e32 v9, v2, v4, vcc_lo
	v_add_co_u32 v0, s0, v8, v9
	v_add_co_ci_u32_e64 v1, null, 0, 0, s0
	s_load_dwordx4 s[0:3], s[4:5], 0x0
	v_lshrrev_b64 v[2:3], 1, v[0:1]
	v_alignbit_b32 v0, v1, v0, 1
	v_add_nc_u32_e32 v1, 1, v0
	v_lshlrev_b64 v[2:3], 2, v[2:3]
	v_add_co_u32 v4, vcc_lo, s28, v2
	v_add_co_ci_u32_e64 v5, null, s29, v3, vcc_lo
	s_waitcnt vmcnt(0)
	v_lshlrev_b32_e32 v3, 2, v7
	global_load_dword v2, v[4:5], off offset:1848
	s_waitcnt lgkmcnt(0)
	global_load_dword v5, v3, s[0:1]
	v_lshlrev_b32_e32 v4, 1, v7
	global_load_ushort v18, v4, s[2:3]
	s_waitcnt vmcnt(2)
	v_cmp_gt_i32_e32 vcc_lo, v2, v6
	s_waitcnt vmcnt(1)
	v_cvt_f16_i16_e32 v2, v5
	v_cvt_f16_i16_sdwa v5, v5 dst_sel:DWORD dst_unused:UNUSED_PAD src0_sel:WORD_1
	v_cndmask_b32_e32 v6, v1, v8, vcc_lo
	v_cndmask_b32_e32 v0, v9, v0, vcc_lo
	v_cvt_f32_f16_e32 v1, v2
	v_cvt_f32_f16_e32 v2, v5
	v_add_nc_u32_e32 v0, v6, v0
	s_cbranch_scc1 .LBB1_10
; %bb.1:
	v_mov_b32_e32 v13, v1
	v_mov_b32_e32 v12, v2
	s_cmp_eq_u32 s6, 2
	s_cbranch_scc0 .LBB1_9
; %bb.2:
	v_lshrrev_b32_e32 v5, 1, v0
	v_mul_f32_e32 v12, 0.5, v2
	v_mul_lo_u16 v6, 0xab, v5
	v_lshrrev_b16 v6, 9, v6
	v_mul_lo_u16 v6, v6, 3
	v_sub_nc_u16 v5, v5, v6
	v_mov_b32_e32 v6, 1
	v_cmp_gt_i16_sdwa s7, v5, v6 src0_sel:BYTE_0 src1_sel:DWORD
	s_and_saveexec_b32 s8, s7
	s_xor_b32 s7, exec_lo, s8
; %bb.3:
	v_add_f32_e32 v12, 0.5, v12
                                        ; implicit-def: $vgpr5
; %bb.4:
	s_or_saveexec_b32 s7, s7
	v_mul_f32_e32 v13, 0.5, v1
	s_xor_b32 exec_lo, exec_lo, s7
	s_cbranch_execz .LBB1_8
; %bb.5:
	v_mov_b32_e32 v6, 1
	v_cmp_eq_u16_sdwa s9, v5, v6 src0_sel:BYTE_0 src1_sel:DWORD
	s_and_saveexec_b32 s8, s9
; %bb.6:
	v_add_f32_e32 v13, 0.5, v13
; %bb.7:
	s_or_b32 exec_lo, exec_lo, s8
.LBB1_8:
	s_or_b32 exec_lo, exec_lo, s7
.LBB1_9:
	s_mov_b32 s7, 0
	s_branch .LBB1_11
.LBB1_10:
	s_mov_b32 s7, -1
                                        ; implicit-def: $vgpr13
                                        ; implicit-def: $vgpr12
.LBB1_11:
	v_add_co_u32 v4, s2, s2, v4
	v_add_co_u32 v6, s0, s0, v3
	v_add_co_ci_u32_e64 v5, null, s3, 0, s2
	v_add_co_ci_u32_e64 v7, null, s1, 0, s0
	s_andn2_b32 vcc_lo, exec_lo, s7
	s_cbranch_vccnz .LBB1_21
; %bb.12:
	s_cmp_lg_u32 s6, 1
	s_cbranch_scc1 .LBB1_20
; %bb.13:
	v_mul_hi_i32 v3, 0x55555556, v10
	v_mul_f32_e32 v2, 0.5, v2
	s_mov_b32 s0, exec_lo
	v_lshrrev_b32_e32 v8, 31, v3
	v_add_nc_u32_e32 v3, v3, v8
	v_lshl_add_u32 v3, v3, 1, v3
	v_sub_nc_u32_e32 v3, v10, v3
	v_cmpx_lt_i32_e32 1, v3
	s_xor_b32 s0, exec_lo, s0
; %bb.14:
	v_add_f32_e32 v2, 0.5, v2
                                        ; implicit-def: $vgpr3
; %bb.15:
	s_or_saveexec_b32 s0, s0
	v_mul_f32_e32 v1, 0.5, v1
	s_xor_b32 exec_lo, exec_lo, s0
	s_cbranch_execz .LBB1_19
; %bb.16:
	s_mov_b32 s1, exec_lo
	v_cmpx_eq_u32_e32 1, v3
; %bb.17:
	v_add_f32_e32 v1, 0.5, v1
; %bb.18:
	s_or_b32 exec_lo, exec_lo, s1
.LBB1_19:
	s_or_b32 exec_lo, exec_lo, s0
.LBB1_20:
	v_mov_b32_e32 v12, v2
	v_mov_b32_e32 v13, v1
.LBB1_21:
	v_lshrrev_b32_e32 v8, 1, v0
	s_load_dwordx2 s[2:3], s[4:5], 0x20
	v_mov_b32_e32 v11, 0
	s_mov_b32 s33, 0x7fffff
	s_mov_b32 s34, 0x37d75334
	v_mad_u64_u32 v[14:15], null, v8, 24, s[28:29]
	v_mov_b32_e32 v9, v11
	s_mov_b32 s36, 0x3c971480
	s_mov_b32 s35, 0xbc8cedd3
	;; [unrolled: 1-line block ×3, first 2 shown]
	s_clause 0x1
	global_load_dwordx2 v[16:17], v[14:15], off offset:896
	global_load_dwordx4 v[0:3], v[14:15], off offset:880
	s_mov_b32 s30, s31
	s_waitcnt vmcnt(0)
	v_mul_f32_e32 v19, v12, v1
	v_fmac_f32_e32 v19, v13, v0
	v_mul_f32_e32 v0, v12, v16
	v_add_f32_e32 v19, v2, v19
	v_fmac_f32_e32 v0, v13, v3
	v_cmp_class_f32_e64 s1, v19, 0x204
	v_add_f32_e32 v3, v17, v0
	v_and_b32_e32 v42, 0x7fffffff, v19
	v_mul_f32_e32 v104, 0x40490fdb, v19
	v_cmp_gt_f32_e64 s16, 0x48000000, |v19|
	v_cmp_class_f32_e64 s17, v19, 0x1f8
	v_mul_f32_e32 v24, v3, v3
	v_and_or_b32 v35, v42, s33, 0x800000
	v_and_b32_e32 v46, 0x7fffffff, v3
	v_and_b32_e32 v105, 0x7fffffff, v104
	v_mul_f32_e32 v113, 0x40490fdb, v3
	v_fma_f32 v0, v19, v19, v24
	v_mad_u64_u32 v[26:27], null, 0xfe5163ab, v35, 0
	v_mul_f32_e32 v81, 0x40400000, v3
	v_and_b32_e32 v114, 0x7fffffff, v113
	v_cmp_gt_f32_e32 vcc_lo, 0xf800000, v0
	v_mul_f32_e32 v12, 0x4f800000, v0
	v_cmp_gt_f32_e64 s18, 0x48000000, |v3|
	v_and_b32_e32 v82, 0x7fffffff, v81
	v_cmp_class_f32_e64 s19, v3, 0x1f8
	v_cmp_gt_f32_e64 s22, 0x48000000, |v104|
	v_cndmask_b32_e32 v12, v0, v12, vcc_lo
	v_cmp_class_f32_e64 s23, v104, 0x1f8
	v_cmp_gt_f32_e64 s24, 0x48000000, |v113|
	v_cmp_class_f32_e64 s25, v113, 0x1f8
	v_cmp_gt_f32_e64 s15, 0x48000000, |v81|
	v_sqrt_f32_e32 v13, v12
	v_cmp_class_f32_e64 s11, v81, 0x1f8
	v_add_nc_u32_e32 v20, -1, v13
	v_fma_f32 v21, -v20, v13, v12
	v_cmp_ge_f32_e64 s0, 0, v21
	v_add_nc_u32_e32 v21, 1, v13
	v_cndmask_b32_e64 v20, v13, v20, s0
	v_fma_f32 v13, -v21, v13, v12
	v_cmp_lt_f32_e64 s0, 0, v13
	v_cndmask_b32_e64 v13, v20, v21, s0
	s_mov_b32 s0, 0x3b2d2a58
	v_mul_f32_e32 v20, 0x37800000, v13
	v_cndmask_b32_e32 v13, v13, v20, vcc_lo
	v_cmp_class_f32_e64 vcc_lo, v12, 0x260
	v_cndmask_b32_e32 v20, v13, v12, vcc_lo
	v_div_scale_f32 v12, null, v20, v20, 1.0
	v_cmp_gt_f32_e64 s7, 0x48000000, |v20|
	v_cmp_class_f32_e64 s9, v20, 0x1f8
	v_rcp_f32_e32 v13, v12
	v_fma_f32 v21, -v12, v13, 1.0
	v_fmac_f32_e32 v13, v21, v13
	v_div_scale_f32 v21, vcc_lo, 1.0, v20, 1.0
	v_mul_f32_e32 v22, v21, v13
	v_fma_f32 v23, -v12, v22, v21
	v_fmac_f32_e32 v22, v23, v13
	v_fma_f32 v12, -v12, v22, v21
	v_div_fmas_f32 v12, v12, v13, v22
	v_max_f32_e64 v13, |v3|, |v19|
	v_cmp_gt_f32_e64 vcc_lo, |v19|, |v3|
	v_div_fixup_f32 v39, v12, v20, 1.0
	v_frexp_exp_i32_f32_e32 v21, v13
	v_frexp_mant_f32_e32 v13, v13
	v_min_f32_e64 v12, |v3|, |v19|
	v_rcp_f32_e32 v13, v13
	v_frexp_exp_i32_f32_e32 v22, v12
	v_frexp_mant_f32_e32 v12, v12
	v_mul_f32_e32 v12, v12, v13
	v_sub_nc_u32_e32 v13, v22, v21
	v_ldexp_f32 v12, v12, v13
	v_mul_f32_e32 v13, v12, v12
	v_fmaak_f32 v21, s0, v13, 0xbc7a590c
	v_cmp_gt_i32_e64 s0, 0, v3
	v_fmaak_f32 v21, v13, v21, 0x3d29fb3f
	v_fmaak_f32 v21, v13, v21, 0xbd97d4d7
	;; [unrolled: 1-line block ×6, first 2 shown]
	v_mul_f32_e32 v13, v13, v21
	v_fmac_f32_e32 v12, v12, v13
	v_sub_f32_e32 v13, 0x3fc90fdb, v12
	v_cndmask_b32_e32 v12, v12, v13, vcc_lo
	v_cmp_gt_f32_e32 vcc_lo, 0, v3
	v_sub_f32_e32 v13, 0x40490fdb, v12
	v_cndmask_b32_e32 v12, v12, v13, vcc_lo
	v_cndmask_b32_e64 v13, 0, 0x40490fdb, s0
	v_cmp_eq_f32_e64 s0, 0, v19
	v_cndmask_b32_e64 v12, v12, v13, s0
	v_mov_b32_e32 v13, 0x4016cbe4
	v_cmp_class_f32_e64 s0, v3, 0x204
	v_cndmask_b32_e32 v13, 0x3f490fdb, v13, vcc_lo
	s_and_b32 vcc_lo, s1, s0
	v_cndmask_b32_e32 v12, v12, v13, vcc_lo
	v_cmp_o_f32_e32 vcc_lo, v3, v19
	v_cndmask_b32_e32 v31, 0x7fc00000, v12, vcc_lo
	v_lshlrev_b64 v[12:13], 4, v[8:9]
	v_and_b32_e32 v53, 0x7fffffff, v31
	v_bfi_b32 v21, 0x7fffffff, v31, v19
	v_add_co_u32 v22, vcc_lo, v14, v12
	v_and_b32_e32 v12, 0x3fffff, v10
	v_add_co_ci_u32_e64 v23, null, v15, v13, vcc_lo
	v_and_or_b32 v40, v53, s33, 0x800000
	v_cmp_gt_f32_e64 s20, 0x48000000, |v31|
	v_lshlrev_b32_e32 v12, 2, v12
	v_cmp_class_f32_e64 s21, v31, 0x1f8
	v_add_f32_e32 v83, v20, v21
	s_waitcnt lgkmcnt(0)
	v_add_co_u32 v12, s0, s2, v12
	v_add_co_ci_u32_e64 v13, null, s3, 0, s0
	s_load_dword s0, s[28:29], 0x730
	v_and_b32_e32 v84, 0x7fffffff, v83
	v_cmp_gt_f32_e64 s12, 0x48000000, |v83|
	v_cmp_class_f32_e64 s14, v83, 0x1f8
	v_and_or_b32 v61, v84, s33, 0x800000
	s_waitcnt lgkmcnt(0)
	v_lshl_add_u32 v10, s0, 7, v10
	v_and_b32_e32 v10, 0x3fffff, v10
	v_lshlrev_b32_e32 v10, 2, v10
	v_add_co_u32 v14, s0, s2, v10
	v_lshrrev_b32_e32 v10, 23, v42
	v_add_co_ci_u32_e64 v15, null, s3, 0, s0
	v_add_nc_u32_e32 v10, 0xffffff88, v10
	v_cmp_lt_u32_e32 vcc_lo, 63, v10
	v_cndmask_b32_e64 v25, 0, 0xffffffc0, vcc_lo
	v_add_nc_u32_e32 v10, v25, v10
	v_cmp_lt_u32_e64 s0, 31, v10
	v_cndmask_b32_e64 v25, 0, 0xffffffe0, s0
	v_add_nc_u32_e32 v10, v25, v10
	v_cmp_lt_u32_e64 s1, 31, v10
	v_cndmask_b32_e64 v25, 0, 0xffffffe0, s1
	v_add_nc_u32_e32 v25, v25, v10
	v_mov_b32_e32 v10, v27
	v_cmp_eq_u32_e64 s2, 0, v25
	v_mad_u64_u32 v[27:28], null, 0x3c439041, v35, v[10:11]
	v_sub_nc_u32_e32 v25, 32, v25
	v_mov_b32_e32 v10, v28
	v_mad_u64_u32 v[28:29], null, 0xdb629599, v35, v[10:11]
	v_mov_b32_e32 v10, v29
	v_cndmask_b32_e32 v26, v28, v26, vcc_lo
	v_mad_u64_u32 v[29:30], null, 0xf534ddc0, v35, v[10:11]
	v_mov_b32_e32 v10, v30
	v_cndmask_b32_e32 v27, v29, v27, vcc_lo
	v_mad_u64_u32 v[32:33], null, 0xfc2757d1, v35, v[10:11]
	v_cndmask_b32_e64 v26, v27, v26, s0
	v_mov_b32_e32 v10, v33
	v_mad_u64_u32 v[33:34], null, 0x4e441529, v35, v[10:11]
	v_mov_b32_e32 v10, v34
	v_cndmask_b32_e32 v30, v33, v29, vcc_lo
	v_mad_u64_u32 v[34:35], null, 0xa2f9836e, v35, v[10:11]
	v_cndmask_b32_e32 v10, v34, v32, vcc_lo
	v_cndmask_b32_e32 v33, v35, v33, vcc_lo
	v_cndmask_b32_e32 v32, v32, v28, vcc_lo
	v_cndmask_b32_e64 v34, v10, v30, s0
	v_cndmask_b32_e64 v10, v33, v10, s0
	;; [unrolled: 1-line block ×8, first 2 shown]
	v_alignbit_b32 v34, v10, v33, v25
	v_alignbit_b32 v32, v33, v30, v25
	;; [unrolled: 1-line block ×3, first 2 shown]
	v_cndmask_b32_e64 v10, v34, v10, s2
	v_cndmask_b32_e64 v32, v32, v33, s2
	;; [unrolled: 1-line block ×3, first 2 shown]
	v_bfe_u32 v35, v10, 29, 1
	v_alignbit_b32 v33, v10, v32, 30
	v_alignbit_b32 v27, v32, v25, 30
	;; [unrolled: 1-line block ×3, first 2 shown]
	v_lshrrev_b32_e32 v34, 29, v10
	v_sub_nc_u32_e32 v36, 0, v35
	v_lshrrev_b32_e32 v10, 30, v10
	v_xor_b32_e32 v33, v33, v36
	v_xor_b32_e32 v27, v27, v36
	;; [unrolled: 1-line block ×3, first 2 shown]
	v_add_nc_u32_e32 v44, v35, v10
	v_mul_f32_e64 v10, 0x3f22f983, |v19|
	v_ffbh_u32_e32 v28, v33
	v_and_or_b32 v35, v46, s33, 0x800000
	v_rndne_f32_e32 v10, v10
	v_min_u32_e32 v28, 32, v28
	v_fma_f32 v45, 0xbfc90fda, v10, |v19|
	v_sub_nc_u32_e32 v29, 31, v28
	v_cvt_i32_f32_e32 v47, v10
	v_fmac_f32_e32 v45, 0xb3a22168, v10
	v_alignbit_b32 v30, v33, v27, v29
	v_alignbit_b32 v25, v27, v25, v29
	v_fmac_f32_e32 v45, 0xa7c234c4, v10
	v_lshrrev_b32_e32 v10, 23, v46
	v_alignbit_b32 v26, v30, v25, 9
	v_add_nc_u32_e32 v10, 0xffffff88, v10
	v_ffbh_u32_e32 v27, v26
	v_cmp_lt_u32_e32 vcc_lo, 63, v10
	v_min_u32_e32 v27, 32, v27
	v_not_b32_e32 v29, v27
	v_add_lshl_u32 v27, v27, v28, 23
	v_lshlrev_b32_e32 v28, 23, v28
	v_alignbit_b32 v25, v26, v25, v29
	v_lshlrev_b32_e32 v26, 31, v34
	v_lshrrev_b32_e32 v25, 9, v25
	v_or_b32_e32 v29, 0x33000000, v26
	v_or_b32_e32 v26, 0.5, v26
	v_sub_nc_u32_e32 v27, v29, v27
	v_sub_nc_u32_e32 v26, v26, v28
	v_or_b32_e32 v25, v27, v25
	v_lshrrev_b32_e32 v27, 9, v30
	v_or_b32_e32 v26, v27, v26
	v_mul_f32_e32 v27, 0x3fc90fda, v26
	v_fma_f32 v28, 0x3fc90fda, v26, -v27
	v_fmac_f32_e32 v28, 0x33a22168, v26
	v_fmac_f32_e32 v28, 0x3fc90fda, v25
	v_cndmask_b32_e64 v25, 0, 0xffffffc0, vcc_lo
	v_add_f32_e32 v43, v27, v28
	v_add_nc_u32_e32 v10, v25, v10
	v_mad_u64_u32 v[26:27], null, 0xfe5163ab, v35, 0
	v_cmp_lt_u32_e64 s0, 31, v10
	v_cndmask_b32_e64 v25, 0, 0xffffffe0, s0
	v_add_nc_u32_e32 v10, v25, v10
	v_cmp_lt_u32_e64 s1, 31, v10
	v_cndmask_b32_e64 v25, 0, 0xffffffe0, s1
	v_add_nc_u32_e32 v25, v25, v10
	v_mov_b32_e32 v10, v27
	v_cmp_eq_u32_e64 s2, 0, v25
	v_mad_u64_u32 v[27:28], null, 0x3c439041, v35, v[10:11]
	v_sub_nc_u32_e32 v25, 32, v25
	v_mov_b32_e32 v10, v28
	v_mad_u64_u32 v[28:29], null, 0xdb629599, v35, v[10:11]
	v_mov_b32_e32 v10, v29
	v_cndmask_b32_e32 v26, v28, v26, vcc_lo
	v_mad_u64_u32 v[29:30], null, 0xf534ddc0, v35, v[10:11]
	v_mov_b32_e32 v10, v30
	v_cndmask_b32_e32 v27, v29, v27, vcc_lo
	v_mad_u64_u32 v[32:33], null, 0xfc2757d1, v35, v[10:11]
	v_cndmask_b32_e64 v26, v27, v26, s0
	v_mov_b32_e32 v10, v33
	v_mad_u64_u32 v[33:34], null, 0x4e441529, v35, v[10:11]
	v_mov_b32_e32 v10, v34
	v_cndmask_b32_e32 v30, v33, v29, vcc_lo
	v_mad_u64_u32 v[34:35], null, 0xa2f9836e, v35, v[10:11]
	v_cndmask_b32_e32 v10, v34, v32, vcc_lo
	v_cndmask_b32_e32 v33, v35, v33, vcc_lo
	;; [unrolled: 1-line block ×3, first 2 shown]
	v_cndmask_b32_e64 v34, v10, v30, s0
	v_cndmask_b32_e64 v10, v33, v10, s0
	;; [unrolled: 1-line block ×8, first 2 shown]
	v_alignbit_b32 v34, v10, v33, v25
	v_alignbit_b32 v32, v33, v30, v25
	;; [unrolled: 1-line block ×3, first 2 shown]
	v_cndmask_b32_e64 v10, v34, v10, s2
	v_cndmask_b32_e64 v32, v32, v33, s2
	;; [unrolled: 1-line block ×3, first 2 shown]
	v_bfe_u32 v35, v10, 29, 1
	v_alignbit_b32 v33, v10, v32, 30
	v_alignbit_b32 v27, v32, v25, 30
	;; [unrolled: 1-line block ×3, first 2 shown]
	v_lshrrev_b32_e32 v34, 29, v10
	v_sub_nc_u32_e32 v36, 0, v35
	v_lshrrev_b32_e32 v10, 30, v10
	v_xor_b32_e32 v33, v33, v36
	v_xor_b32_e32 v27, v27, v36
	;; [unrolled: 1-line block ×3, first 2 shown]
	v_add_nc_u32_e32 v51, v35, v10
	v_add_nc_u32_e32 v49, v34, v10
	v_ffbh_u32_e32 v28, v33
	v_fma_f32 v10, v19, v19, -v24
	v_min_u32_e32 v28, 32, v28
	v_div_scale_f32 v24, null, v10, v10, 1.0
	v_sub_nc_u32_e32 v29, 31, v28
	v_alignbit_b32 v30, v33, v27, v29
	v_alignbit_b32 v25, v27, v25, v29
	;; [unrolled: 1-line block ×3, first 2 shown]
	v_ffbh_u32_e32 v27, v26
	v_min_u32_e32 v27, 32, v27
	v_not_b32_e32 v29, v27
	v_add_lshl_u32 v27, v27, v28, 23
	v_lshlrev_b32_e32 v28, 23, v28
	v_alignbit_b32 v25, v26, v25, v29
	v_lshlrev_b32_e32 v26, 31, v34
	v_lshrrev_b32_e32 v25, 9, v25
	v_or_b32_e32 v29, 0x33000000, v26
	v_or_b32_e32 v26, 0.5, v26
	v_sub_nc_u32_e32 v27, v29, v27
	v_sub_nc_u32_e32 v26, v26, v28
	v_or_b32_e32 v25, v27, v25
	v_lshrrev_b32_e32 v27, 9, v30
	v_or_b32_e32 v26, v27, v26
	v_mul_f32_e32 v27, 0x3fc90fda, v26
	v_fma_f32 v28, 0x3fc90fda, v26, -v27
	v_fmac_f32_e32 v28, 0x33a22168, v26
	v_fmac_f32_e32 v28, 0x3fc90fda, v25
	v_mul_f32_e64 v25, 0x3f22f983, |v3|
	v_add_f32_e32 v50, v27, v28
	v_rndne_f32_e32 v25, v25
	v_fma_f32 v52, 0xbfc90fda, v25, |v3|
	v_cvt_i32_f32_e32 v48, v25
	v_fmac_f32_e32 v52, 0xb3a22168, v25
	v_fmac_f32_e32 v52, 0xa7c234c4, v25
	v_rcp_f32_e32 v25, v24
	v_fma_f32 v26, -v24, v25, 1.0
	v_fmac_f32_e32 v25, v26, v25
	v_div_scale_f32 v26, vcc_lo, 1.0, v10, 1.0
	v_mul_f32_e32 v27, v26, v25
	v_fma_f32 v28, -v24, v27, v26
	v_fmac_f32_e32 v27, v28, v25
	v_fma_f32 v24, -v24, v27, v26
	v_mul_f32_e32 v26, v20, v20
	v_div_fmas_f32 v24, v24, v25, v27
	v_div_fixup_f32 v10, v24, v10, 1.0
	v_mul_f32_e64 v24, v19, |v10|
	v_mul_f32_e64 v25, v3, |v10|
	v_fma_f32 v10, v20, v20, 4.0
	v_div_scale_f32 v27, null, v10, v10, 4.0
	v_rcp_f32_e32 v28, v27
	v_fma_f32 v29, -v27, v28, 1.0
	v_fmac_f32_e32 v28, v29, v28
	v_div_scale_f32 v29, vcc_lo, 4.0, v10, 4.0
	v_mul_f32_e32 v30, v29, v28
	v_fma_f32 v32, -v27, v30, v29
	v_fmac_f32_e32 v30, v32, v28
	v_fma_f32 v27, -v27, v30, v29
	v_div_fmas_f32 v27, v27, v28, v30
	v_div_fixup_f32 v10, v27, v10, 4.0
	v_mul_f32_e32 v27, v19, v10
	v_mul_f32_e32 v28, v3, v10
	v_add_f32_e32 v10, 1.0, v20
	v_div_scale_f32 v29, null, v10, v10, 2.0
	v_rcp_f32_e32 v30, v29
	v_fma_f32 v32, -v29, v30, 1.0
	v_fmac_f32_e32 v30, v32, v30
	v_div_scale_f32 v32, vcc_lo, 2.0, v10, 2.0
	v_mul_f32_e32 v33, v32, v30
	v_fma_f32 v34, -v29, v33, v32
	v_fmac_f32_e32 v33, v34, v30
	v_fma_f32 v29, -v29, v33, v32
	v_div_fmas_f32 v29, v29, v30, v33
	v_div_fixup_f32 v10, v29, v10, 2.0
	v_mul_f32_e32 v29, v19, v10
	v_mul_f32_e32 v30, v3, v10
	v_lshrrev_b32_e32 v10, 23, v53
	v_add_nc_u32_e32 v10, 0xffffff88, v10
	v_cmp_lt_u32_e32 vcc_lo, 63, v10
	v_cndmask_b32_e64 v32, 0, 0xffffffc0, vcc_lo
	v_add_nc_u32_e32 v10, v32, v10
	v_cmp_lt_u32_e64 s0, 31, v10
	v_cndmask_b32_e64 v32, 0, 0xffffffe0, s0
	v_add_nc_u32_e32 v10, v32, v10
	v_cmp_lt_u32_e64 s1, 31, v10
	v_cndmask_b32_e64 v32, 0, 0xffffffe0, s1
	v_add_nc_u32_e32 v54, v32, v10
	v_mad_u64_u32 v[32:33], null, 0xfe5163ab, v40, 0
	v_cmp_eq_u32_e64 s2, 0, v54
	v_mov_b32_e32 v10, v33
	v_mad_u64_u32 v[33:34], null, 0x3c439041, v40, v[10:11]
	v_mov_b32_e32 v10, v34
	v_mad_u64_u32 v[34:35], null, 0xdb629599, v40, v[10:11]
	v_mov_b32_e32 v10, v35
	v_cndmask_b32_e32 v32, v34, v32, vcc_lo
	v_mad_u64_u32 v[35:36], null, 0xf534ddc0, v40, v[10:11]
	v_mov_b32_e32 v10, v36
	v_cndmask_b32_e32 v33, v35, v33, vcc_lo
	v_mad_u64_u32 v[36:37], null, 0xfc2757d1, v40, v[10:11]
	v_cndmask_b32_e64 v32, v33, v32, s0
	v_mov_b32_e32 v10, v37
	v_mad_u64_u32 v[37:38], null, 0x4e441529, v40, v[10:11]
	v_mov_b32_e32 v10, v38
	v_cndmask_b32_e32 v55, v37, v35, vcc_lo
	v_mad_u64_u32 v[40:41], null, 0xa2f9836e, v40, v[10:11]
	v_cndmask_b32_e32 v10, v40, v36, vcc_lo
	v_cndmask_b32_e32 v37, v41, v37, vcc_lo
	v_cndmask_b32_e32 v36, v36, v34, vcc_lo
	v_sub_nc_u32_e32 v40, 32, v54
	v_cndmask_b32_e64 v38, v10, v55, s0
	v_cndmask_b32_e64 v10, v37, v10, s0
	;; [unrolled: 1-line block ×8, first 2 shown]
	v_alignbit_b32 v41, v10, v38, v40
	v_alignbit_b32 v37, v38, v36, v40
	;; [unrolled: 1-line block ×3, first 2 shown]
	v_cndmask_b32_e64 v10, v41, v10, s2
	v_cndmask_b32_e64 v37, v37, v38, s2
	;; [unrolled: 1-line block ×3, first 2 shown]
	v_bfe_u32 v55, v10, 29, 1
	v_alignbit_b32 v38, v10, v37, 30
	v_lshrrev_b32_e32 v41, 29, v10
	v_alignbit_b32 v34, v37, v33, 30
	v_alignbit_b32 v32, v33, v32, 30
	v_sub_nc_u32_e32 v54, 0, v55
	v_lshrrev_b32_e32 v10, 30, v10
	v_xor_b32_e32 v38, v38, v54
	v_xor_b32_e32 v34, v34, v54
	;; [unrolled: 1-line block ×3, first 2 shown]
	v_add_nc_u32_e32 v101, v55, v10
	v_mul_f32_e64 v10, 0x3f22f983, |v31|
	v_ffbh_u32_e32 v35, v38
	v_rndne_f32_e32 v10, v10
	v_min_u32_e32 v35, 32, v35
	v_fma_f32 v102, 0xbfc90fda, v10, |v31|
	v_sub_nc_u32_e32 v36, 31, v35
	v_cvt_i32_f32_e32 v103, v10
	v_fmac_f32_e32 v102, 0xb3a22168, v10
	v_alignbit_b32 v37, v38, v34, v36
	v_alignbit_b32 v32, v34, v32, v36
	v_and_or_b32 v38, v105, s33, 0x800000
	v_fmac_f32_e32 v102, 0xa7c234c4, v10
	v_lshrrev_b32_e32 v10, 23, v105
	v_alignbit_b32 v33, v37, v32, 9
	v_add_nc_u32_e32 v10, 0xffffff88, v10
	v_ffbh_u32_e32 v34, v33
	v_cmp_lt_u32_e32 vcc_lo, 63, v10
	v_min_u32_e32 v34, 32, v34
	v_cndmask_b32_e64 v31, 0, 0xffffffc0, vcc_lo
	v_not_b32_e32 v36, v34
	v_add_lshl_u32 v34, v34, v35, 23
	v_lshlrev_b32_e32 v35, 23, v35
	v_add_nc_u32_e32 v10, v31, v10
	v_alignbit_b32 v32, v33, v32, v36
	v_lshlrev_b32_e32 v33, 31, v41
	v_cmp_lt_u32_e64 s0, 31, v10
	v_lshrrev_b32_e32 v32, 9, v32
	v_or_b32_e32 v36, 0x33000000, v33
	v_or_b32_e32 v33, 0.5, v33
	v_cndmask_b32_e64 v31, 0, 0xffffffe0, s0
	v_sub_nc_u32_e32 v34, v36, v34
	v_sub_nc_u32_e32 v33, v33, v35
	v_add_nc_u32_e32 v10, v31, v10
	v_or_b32_e32 v32, v34, v32
	v_lshrrev_b32_e32 v34, 9, v37
	v_cmp_lt_u32_e64 s1, 31, v10
	v_or_b32_e32 v33, v34, v33
	v_cndmask_b32_e64 v31, 0, 0xffffffe0, s1
	v_mul_f32_e32 v34, 0x3fc90fda, v33
	v_add_nc_u32_e32 v40, v31, v10
	v_fma_f32 v35, 0x3fc90fda, v33, -v34
	v_cmp_eq_u32_e64 s2, 0, v40
	v_fmac_f32_e32 v35, 0x33a22168, v33
	v_fmac_f32_e32 v35, 0x3fc90fda, v32
	v_mad_u64_u32 v[31:32], null, 0xfe5163ab, v38, 0
	v_add_f32_e32 v54, v34, v35
	v_mov_b32_e32 v10, v32
	v_mad_u64_u32 v[32:33], null, 0x3c439041, v38, v[10:11]
	v_mov_b32_e32 v10, v33
	v_mad_u64_u32 v[33:34], null, 0xdb629599, v38, v[10:11]
	v_mov_b32_e32 v10, v34
	v_cndmask_b32_e32 v31, v33, v31, vcc_lo
	v_mad_u64_u32 v[34:35], null, 0xf534ddc0, v38, v[10:11]
	v_mov_b32_e32 v10, v35
	v_cndmask_b32_e32 v32, v34, v32, vcc_lo
	v_mad_u64_u32 v[35:36], null, 0xfc2757d1, v38, v[10:11]
	v_cndmask_b32_e64 v31, v32, v31, s0
	v_mov_b32_e32 v10, v36
	v_mad_u64_u32 v[36:37], null, 0x4e441529, v38, v[10:11]
	v_mov_b32_e32 v10, v37
	v_cndmask_b32_e32 v41, v36, v34, vcc_lo
	v_mad_u64_u32 v[37:38], null, 0xa2f9836e, v38, v[10:11]
	v_cndmask_b32_e32 v10, v37, v35, vcc_lo
	v_cndmask_b32_e32 v36, v38, v36, vcc_lo
	;; [unrolled: 1-line block ×3, first 2 shown]
	v_sub_nc_u32_e32 v38, 32, v40
	v_cndmask_b32_e64 v37, v10, v41, s0
	v_cndmask_b32_e64 v10, v36, v10, s0
	;; [unrolled: 1-line block ×4, first 2 shown]
	s_mov_b32 s0, 0x3ab42872
	v_cndmask_b32_e64 v10, v10, v37, s1
	v_cndmask_b32_e64 v37, v37, v36, s1
	;; [unrolled: 1-line block ×4, first 2 shown]
	v_alignbit_b32 v40, v10, v37, v38
	v_alignbit_b32 v36, v37, v35, v38
	v_alignbit_b32 v32, v35, v31, v38
	v_cndmask_b32_e64 v10, v40, v10, s2
	v_cndmask_b32_e64 v36, v36, v37, s2
	;; [unrolled: 1-line block ×3, first 2 shown]
	v_bfe_u32 v41, v10, 29, 1
	v_alignbit_b32 v37, v10, v36, 30
	v_alignbit_b32 v33, v36, v32, 30
	v_alignbit_b32 v31, v32, v31, 30
	v_lshrrev_b32_e32 v40, 29, v10
	v_sub_nc_u32_e32 v55, 0, v41
	v_lshrrev_b32_e32 v10, 30, v10
	v_xor_b32_e32 v37, v37, v55
	v_xor_b32_e32 v33, v33, v55
	;; [unrolled: 1-line block ×3, first 2 shown]
	v_add_nc_u32_e32 v108, v41, v10
	v_mul_f32_e64 v10, 0x3f22f983, |v104|
	v_ffbh_u32_e32 v34, v37
	v_rndne_f32_e32 v10, v10
	v_min_u32_e32 v34, 32, v34
	v_fma_f32 v109, 0xbfc90fda, v10, |v104|
	v_sub_nc_u32_e32 v35, 31, v34
	v_cvt_i32_f32_e32 v110, v10
	v_fmac_f32_e32 v109, 0xb3a22168, v10
	v_alignbit_b32 v36, v37, v33, v35
	v_alignbit_b32 v31, v33, v31, v35
	v_fmac_f32_e32 v109, 0xa7c234c4, v10
	v_add_f32_e64 v10, 0xbf317218, |v3|
	v_alignbit_b32 v32, v36, v31, 9
	v_ffbh_u32_e32 v33, v32
	v_min_u32_e32 v33, 32, v33
	v_not_b32_e32 v35, v33
	v_add_lshl_u32 v33, v33, v34, 23
	v_lshlrev_b32_e32 v34, 23, v34
	v_alignbit_b32 v31, v32, v31, v35
	v_lshlrev_b32_e32 v32, 31, v40
	v_lshrrev_b32_e32 v31, 9, v31
	v_or_b32_e32 v35, 0x33000000, v32
	v_or_b32_e32 v32, 0.5, v32
	v_sub_nc_u32_e32 v33, v35, v33
	v_sub_nc_u32_e32 v32, v32, v34
	v_or_b32_e32 v31, v33, v31
	v_lshrrev_b32_e32 v33, 9, v36
	v_or_b32_e32 v32, v33, v32
	v_mul_f32_e32 v33, 0x3fc90fda, v32
	v_fma_f32 v34, 0x3fc90fda, v32, -v33
	v_fmac_f32_e32 v34, 0x33a22168, v32
	v_fmac_f32_e32 v34, 0x3fc90fda, v31
	v_sub_f32_e64 v31, v10, |v3|
	v_add_f32_e32 v107, v33, v34
	v_sub_f32_e32 v32, v31, v10
	v_add_f32_e32 v31, 0x3f317218, v31
	v_add_f32_e64 v32, |v3|, v32
	v_sub_f32_e32 v31, v32, v31
	v_add_f32_e32 v31, 0x3102e308, v31
	v_add_f32_e32 v32, v10, v31
	v_sub_f32_e32 v10, v10, v32
	v_add_f32_e32 v10, v31, v10
	v_mul_f32_e32 v31, 0x3fb8aa3b, v32
	v_rndne_f32_e32 v31, v31
	v_fmamk_f32 v32, v31, 0xbf317200, v32
	v_add_f32_e32 v33, v10, v32
	v_sub_f32_e32 v32, v32, v33
	v_add_f32_e32 v10, v10, v32
	v_mul_f32_e32 v32, 0x35bfbc00, v31
	v_sub_f32_e32 v34, v33, v32
	v_sub_f32_e32 v33, v33, v34
	;; [unrolled: 1-line block ×3, first 2 shown]
	v_add_f32_e32 v10, v10, v32
	v_add_f32_e32 v32, v34, v10
	v_sub_f32_e32 v33, v34, v32
	v_add_f32_e32 v10, v10, v33
	v_mul_f32_e32 v33, 0x2ea39ef3, v31
	v_cvt_i32_f32_e32 v31, v31
	v_sub_f32_e32 v34, v32, v33
	v_sub_f32_e32 v32, v32, v34
	;; [unrolled: 1-line block ×3, first 2 shown]
	v_add_f32_e32 v10, v10, v32
	v_add_f32_e32 v32, v34, v10
	v_sub_f32_e32 v34, v34, v32
	v_mul_f32_e32 v35, v32, v32
	v_fmaak_f32 v33, s0, v32, 0x3c091de6
	v_cmp_lt_f32_e64 s0, 0x42b2d4fc, |v3|
	v_add_f32_e32 v10, v10, v34
	v_fma_f32 v36, v32, v32, -v35
	v_fmaak_f32 v33, v32, v33, 0x3d2aadcc
	v_add_f32_e32 v34, v10, v10
	v_fmaak_f32 v33, v32, v33, 0x3e2aaa47
	v_fmac_f32_e32 v36, v32, v34
	v_fmaak_f32 v33, v32, v33, 0x3efffffc
	v_add_f32_e32 v34, v35, v36
	v_sub_f32_e32 v35, v34, v35
	v_sub_f32_e32 v35, v36, v35
	v_mul_f32_e32 v36, v33, v34
	v_fma_f32 v34, v34, v33, -v36
	v_fmac_f32_e32 v34, v35, v33
	v_add_f32_e32 v33, v36, v34
	v_sub_f32_e32 v35, v33, v36
	v_sub_f32_e32 v34, v34, v35
	v_add_f32_e32 v35, v32, v33
	v_add_f32_e32 v10, v10, v34
	v_sub_f32_e32 v32, v35, v32
	v_sub_f32_e32 v32, v33, v32
	v_add_f32_e32 v10, v10, v32
	v_add_f32_e32 v32, v35, v10
	v_sub_f32_e32 v33, v32, v35
	v_sub_f32_e32 v10, v10, v33
	v_add_f32_e32 v33, 1.0, v32
	v_add_f32_e32 v34, -1.0, v33
	v_sub_f32_e32 v32, v32, v34
	v_add_f32_e32 v10, v10, v32
	v_add_f32_e32 v32, v33, v10
	v_sub_f32_e32 v33, v32, v33
	v_ldexp_f32 v32, v32, v31
	v_sub_f32_e32 v10, v10, v33
	v_ldexp_f32 v10, v10, v31
	v_rcp_f32_e32 v31, v32
	v_mul_f32_e32 v33, v32, v31
	v_fma_f32 v34, v31, v32, -v33
	v_fmac_f32_e32 v34, v31, v10
	v_add_f32_e32 v35, v33, v34
	v_sub_f32_e32 v36, 1.0, v35
	v_sub_f32_e32 v33, v35, v33
	v_sub_f32_e32 v37, 1.0, v36
	v_sub_f32_e32 v33, v33, v34
	v_sub_f32_e32 v37, v37, v35
	v_add_f32_e32 v33, v33, v37
	v_add_f32_e32 v34, v36, v33
	v_mul_f32_e32 v35, v31, v34
	v_sub_f32_e32 v36, v36, v34
	v_mul_f32_e32 v37, v32, v35
	v_add_f32_e32 v33, v33, v36
	v_fma_f32 v38, v35, v32, -v37
	v_fmac_f32_e32 v38, v35, v10
	v_add_f32_e32 v36, v37, v38
	v_sub_f32_e32 v40, v34, v36
	v_sub_f32_e32 v37, v36, v37
	;; [unrolled: 1-line block ×4, first 2 shown]
	v_add_f32_e32 v33, v33, v34
	v_sub_f32_e32 v34, v37, v38
	v_and_or_b32 v38, v114, s33, 0x800000
	v_add_f32_e32 v33, v34, v33
	v_add_f32_e32 v34, v31, v35
	;; [unrolled: 1-line block ×3, first 2 shown]
	v_mul_f32_e32 v33, v31, v33
	v_sub_f32_e32 v31, v34, v31
	v_sub_f32_e32 v31, v35, v31
	v_add_f32_e32 v31, v31, v33
	v_add_f32_e32 v33, v34, v31
	v_sub_f32_e32 v34, v33, v34
	v_ldexp_f32 v33, v33, -2
	v_sub_f32_e32 v31, v31, v34
	v_add_f32_e32 v34, v32, v33
	v_ldexp_f32 v31, v31, -2
	v_sub_f32_e32 v35, v34, v32
	v_add_f32_e32 v36, v10, v31
	v_sub_f32_e32 v35, v33, v35
	v_add_f32_e32 v35, v36, v35
	v_add_f32_e32 v34, v34, v35
	v_cndmask_b32_e64 v111, v34, 0x7f800000, s0
	v_sub_f32_e32 v34, v32, v33
	v_sub_f32_e32 v32, v32, v34
	;; [unrolled: 1-line block ×3, first 2 shown]
	v_add_f32_e32 v10, v10, v32
	v_sub_f32_e32 v10, v10, v31
	v_add_f32_e32 v10, v34, v10
	v_cndmask_b32_e64 v10, v10, 0x7f800000, s0
	v_cmp_gt_f32_e64 s0, 0x39800000, |v3|
	v_cndmask_b32_e64 v10, v10, |v3|, s0
	v_bfi_b32 v112, 0x7fffffff, v10, v3
	v_add_f32_e32 v10, -1.0, v19
	v_mul_f32_e32 v31, 0x3fb8aa3b, v10
	v_cmp_ngt_f32_e32 vcc_lo, 0xc2ce8ed0, v10
	v_fma_f32 v32, 0x3fb8aa3b, v10, -v31
	v_rndne_f32_e32 v33, v31
	v_fmac_f32_e32 v32, 0x32a5705f, v10
	v_sub_f32_e32 v31, v31, v33
	v_add_f32_e32 v31, v31, v32
	v_cvt_i32_f32_e32 v32, v33
	v_exp_f32_e32 v31, v31
	v_ldexp_f32 v31, v31, v32
	v_cndmask_b32_e32 v31, 0, v31, vcc_lo
	v_cmp_nlt_f32_e32 vcc_lo, 0x42b17218, v10
	v_lshrrev_b32_e32 v10, 23, v114
	v_cndmask_b32_e32 v106, 0x7f800000, v31, vcc_lo
	v_add_nc_u32_e32 v10, 0xffffff88, v10
	v_cmp_lt_u32_e32 vcc_lo, 63, v10
	v_cndmask_b32_e64 v31, 0, 0xffffffc0, vcc_lo
	v_add_nc_u32_e32 v10, v31, v10
	v_cmp_lt_u32_e64 s0, 31, v10
	v_cndmask_b32_e64 v31, 0, 0xffffffe0, s0
	v_add_nc_u32_e32 v10, v31, v10
	v_cmp_lt_u32_e64 s1, 31, v10
	v_cndmask_b32_e64 v31, 0, 0xffffffe0, s1
	v_add_nc_u32_e32 v40, v31, v10
	v_mad_u64_u32 v[31:32], null, 0xfe5163ab, v38, 0
	v_cmp_eq_u32_e64 s2, 0, v40
	v_mov_b32_e32 v10, v32
	v_mad_u64_u32 v[32:33], null, 0x3c439041, v38, v[10:11]
	v_mov_b32_e32 v10, v33
	v_mad_u64_u32 v[33:34], null, 0xdb629599, v38, v[10:11]
	v_mov_b32_e32 v10, v34
	v_cndmask_b32_e32 v31, v33, v31, vcc_lo
	v_mad_u64_u32 v[34:35], null, 0xf534ddc0, v38, v[10:11]
	v_mov_b32_e32 v10, v35
	v_cndmask_b32_e32 v32, v34, v32, vcc_lo
	v_mad_u64_u32 v[35:36], null, 0xfc2757d1, v38, v[10:11]
	v_cndmask_b32_e64 v31, v32, v31, s0
	v_mov_b32_e32 v10, v36
	v_mad_u64_u32 v[36:37], null, 0x4e441529, v38, v[10:11]
	v_mov_b32_e32 v10, v37
	v_cndmask_b32_e32 v41, v36, v34, vcc_lo
	v_mad_u64_u32 v[37:38], null, 0xa2f9836e, v38, v[10:11]
	v_cndmask_b32_e32 v10, v37, v35, vcc_lo
	v_cndmask_b32_e32 v36, v38, v36, vcc_lo
	;; [unrolled: 1-line block ×3, first 2 shown]
	v_sub_nc_u32_e32 v38, 32, v40
	v_cndmask_b32_e64 v37, v10, v41, s0
	v_cndmask_b32_e64 v10, v36, v10, s0
	;; [unrolled: 1-line block ×8, first 2 shown]
	v_alignbit_b32 v40, v10, v37, v38
	v_alignbit_b32 v36, v37, v35, v38
	;; [unrolled: 1-line block ×3, first 2 shown]
	v_and_or_b32 v38, v82, s33, 0x800000
	v_cndmask_b32_e64 v10, v40, v10, s2
	v_cndmask_b32_e64 v36, v36, v37, s2
	;; [unrolled: 1-line block ×3, first 2 shown]
	v_bfe_u32 v41, v10, 29, 1
	v_alignbit_b32 v37, v10, v36, 30
	v_alignbit_b32 v33, v36, v32, 30
	;; [unrolled: 1-line block ×3, first 2 shown]
	v_lshrrev_b32_e32 v40, 29, v10
	v_sub_nc_u32_e32 v55, 0, v41
	v_lshrrev_b32_e32 v10, 30, v10
	v_xor_b32_e32 v37, v37, v55
	v_xor_b32_e32 v33, v33, v55
	;; [unrolled: 1-line block ×3, first 2 shown]
	v_add_nc_u32_e32 v116, v41, v10
	v_mul_f32_e64 v10, 0x3f22f983, |v113|
	v_ffbh_u32_e32 v34, v37
	v_mul_f32_e32 v55, 0x40400000, v19
	v_rndne_f32_e32 v10, v10
	v_min_u32_e32 v34, 32, v34
	v_and_b32_e32 v56, 0x7fffffff, v55
	v_cmp_gt_f32_e64 s8, 0x48000000, |v55|
	v_cmp_class_f32_e64 s13, v55, 0x1f8
	v_fma_f32 v117, 0xbfc90fda, v10, |v113|
	v_sub_nc_u32_e32 v35, 31, v34
	v_cvt_i32_f32_e32 v118, v10
	v_fmac_f32_e32 v117, 0xb3a22168, v10
	v_alignbit_b32 v36, v37, v33, v35
	v_alignbit_b32 v31, v33, v31, v35
	v_fmac_f32_e32 v117, 0xa7c234c4, v10
	v_lshrrev_b32_e32 v10, 23, v82
	v_alignbit_b32 v32, v36, v31, 9
	v_add_nc_u32_e32 v10, 0xffffff88, v10
	v_ffbh_u32_e32 v33, v32
	v_cmp_lt_u32_e32 vcc_lo, 63, v10
	v_min_u32_e32 v33, 32, v33
	v_not_b32_e32 v35, v33
	v_add_lshl_u32 v33, v33, v34, 23
	v_lshlrev_b32_e32 v34, 23, v34
	v_alignbit_b32 v31, v32, v31, v35
	v_lshlrev_b32_e32 v32, 31, v40
	v_lshrrev_b32_e32 v31, 9, v31
	v_or_b32_e32 v35, 0x33000000, v32
	v_or_b32_e32 v32, 0.5, v32
	v_sub_nc_u32_e32 v33, v35, v33
	v_sub_nc_u32_e32 v32, v32, v34
	v_or_b32_e32 v31, v33, v31
	v_lshrrev_b32_e32 v33, 9, v36
	v_or_b32_e32 v32, v33, v32
	v_mul_f32_e32 v33, 0x3fc90fda, v32
	v_fma_f32 v34, 0x3fc90fda, v32, -v33
	v_fmac_f32_e32 v34, 0x33a22168, v32
	v_fmac_f32_e32 v34, 0x3fc90fda, v31
	v_cndmask_b32_e64 v31, 0, 0xffffffc0, vcc_lo
	v_add_f32_e32 v115, v33, v34
	v_add_nc_u32_e32 v10, v31, v10
	v_cmp_lt_u32_e64 s0, 31, v10
	v_cndmask_b32_e64 v31, 0, 0xffffffe0, s0
	v_add_nc_u32_e32 v10, v31, v10
	v_cmp_lt_u32_e64 s1, 31, v10
	v_cndmask_b32_e64 v31, 0, 0xffffffe0, s1
	v_add_nc_u32_e32 v40, v31, v10
	v_mad_u64_u32 v[31:32], null, 0xfe5163ab, v38, 0
	v_cmp_eq_u32_e64 s2, 0, v40
	v_mov_b32_e32 v10, v32
	v_mad_u64_u32 v[32:33], null, 0x3c439041, v38, v[10:11]
	v_mov_b32_e32 v10, v33
	v_mad_u64_u32 v[33:34], null, 0xdb629599, v38, v[10:11]
	v_mov_b32_e32 v10, v34
	v_cndmask_b32_e32 v31, v33, v31, vcc_lo
	v_mad_u64_u32 v[34:35], null, 0xf534ddc0, v38, v[10:11]
	v_mov_b32_e32 v10, v35
	v_cndmask_b32_e32 v32, v34, v32, vcc_lo
	v_mad_u64_u32 v[35:36], null, 0xfc2757d1, v38, v[10:11]
	v_cndmask_b32_e64 v31, v32, v31, s0
	v_mov_b32_e32 v10, v36
	v_mad_u64_u32 v[36:37], null, 0x4e441529, v38, v[10:11]
	v_mov_b32_e32 v10, v37
	v_cndmask_b32_e32 v41, v36, v34, vcc_lo
	v_mad_u64_u32 v[37:38], null, 0xa2f9836e, v38, v[10:11]
	v_cndmask_b32_e32 v10, v37, v35, vcc_lo
	v_cndmask_b32_e32 v36, v38, v36, vcc_lo
	;; [unrolled: 1-line block ×3, first 2 shown]
	v_sub_nc_u32_e32 v38, 32, v40
	v_cndmask_b32_e64 v37, v10, v41, s0
	v_cndmask_b32_e64 v10, v36, v10, s0
	;; [unrolled: 1-line block ×8, first 2 shown]
	v_alignbit_b32 v40, v10, v37, v38
	v_alignbit_b32 v36, v37, v35, v38
	;; [unrolled: 1-line block ×3, first 2 shown]
	v_and_or_b32 v38, v56, s33, 0x800000
	v_cndmask_b32_e64 v10, v40, v10, s2
	v_cndmask_b32_e64 v36, v36, v37, s2
	v_cndmask_b32_e64 v32, v32, v35, s2
	v_bfe_i32 v41, v10, 29, 1
	v_alignbit_b32 v37, v10, v36, 30
	v_alignbit_b32 v33, v36, v32, 30
	;; [unrolled: 1-line block ×3, first 2 shown]
	v_lshrrev_b32_e32 v40, 29, v10
	v_lshrrev_b32_e32 v10, 30, v10
	v_xor_b32_e32 v37, v37, v41
	v_xor_b32_e32 v33, v33, v41
	;; [unrolled: 1-line block ×3, first 2 shown]
	v_add_nc_u32_e32 v98, v40, v10
	v_ffbh_u32_e32 v34, v37
	v_mul_f32_e64 v10, 0x3f22f983, |v81|
	v_min_u32_e32 v34, 32, v34
	v_rndne_f32_e32 v10, v10
	v_sub_nc_u32_e32 v35, 31, v34
	v_fma_f32 v99, 0xbfc90fda, v10, |v81|
	v_cvt_i32_f32_e32 v100, v10
	v_alignbit_b32 v36, v37, v33, v35
	v_alignbit_b32 v31, v33, v31, v35
	v_fmac_f32_e32 v99, 0xb3a22168, v10
	v_alignbit_b32 v32, v36, v31, 9
	v_fmac_f32_e32 v99, 0xa7c234c4, v10
	v_lshrrev_b32_e32 v10, 23, v56
	v_ffbh_u32_e32 v33, v32
	v_add_nc_u32_e32 v10, 0xffffff88, v10
	v_min_u32_e32 v33, 32, v33
	v_cmp_lt_u32_e32 vcc_lo, 63, v10
	v_not_b32_e32 v35, v33
	v_add_lshl_u32 v33, v33, v34, 23
	v_lshlrev_b32_e32 v34, 23, v34
	v_alignbit_b32 v31, v32, v31, v35
	v_lshlrev_b32_e32 v32, 31, v40
	v_lshrrev_b32_e32 v31, 9, v31
	v_or_b32_e32 v35, 0x33000000, v32
	v_or_b32_e32 v32, 0.5, v32
	v_sub_nc_u32_e32 v33, v35, v33
	v_sub_nc_u32_e32 v32, v32, v34
	v_or_b32_e32 v31, v33, v31
	v_lshrrev_b32_e32 v33, 9, v36
	v_or_b32_e32 v32, v33, v32
	v_mul_f32_e32 v33, 0x3fc90fda, v32
	v_fma_f32 v34, 0x3fc90fda, v32, -v33
	v_fmac_f32_e32 v34, 0x33a22168, v32
	v_fmac_f32_e32 v34, 0x3fc90fda, v31
	v_cndmask_b32_e64 v31, 0, 0xffffffc0, vcc_lo
	v_add_f32_e32 v97, v33, v34
	v_add_nc_u32_e32 v10, v31, v10
	v_cmp_lt_u32_e64 s0, 31, v10
	v_cndmask_b32_e64 v31, 0, 0xffffffe0, s0
	v_add_nc_u32_e32 v10, v31, v10
	v_cmp_lt_u32_e64 s1, 31, v10
	v_cndmask_b32_e64 v31, 0, 0xffffffe0, s1
	v_add_nc_u32_e32 v40, v31, v10
	v_mad_u64_u32 v[31:32], null, 0xfe5163ab, v38, 0
	v_cmp_eq_u32_e64 s2, 0, v40
	v_mov_b32_e32 v10, v32
	v_mad_u64_u32 v[32:33], null, 0x3c439041, v38, v[10:11]
	v_mov_b32_e32 v10, v33
	v_mad_u64_u32 v[33:34], null, 0xdb629599, v38, v[10:11]
	v_mov_b32_e32 v10, v34
	v_cndmask_b32_e32 v31, v33, v31, vcc_lo
	v_mad_u64_u32 v[34:35], null, 0xf534ddc0, v38, v[10:11]
	v_mov_b32_e32 v10, v35
	v_cndmask_b32_e32 v32, v34, v32, vcc_lo
	v_mad_u64_u32 v[35:36], null, 0xfc2757d1, v38, v[10:11]
	v_cndmask_b32_e64 v31, v32, v31, s0
	v_mov_b32_e32 v10, v36
	v_mad_u64_u32 v[36:37], null, 0x4e441529, v38, v[10:11]
	v_mov_b32_e32 v10, v37
	v_cndmask_b32_e32 v41, v36, v34, vcc_lo
	v_mad_u64_u32 v[37:38], null, 0xa2f9836e, v38, v[10:11]
	v_cndmask_b32_e32 v10, v37, v35, vcc_lo
	v_cndmask_b32_e32 v36, v38, v36, vcc_lo
	;; [unrolled: 1-line block ×3, first 2 shown]
	v_sub_nc_u32_e32 v38, 32, v40
	v_cmp_le_f32_e32 vcc_lo, 0, v19
	v_cndmask_b32_e64 v37, v10, v41, s0
	v_cndmask_b32_e64 v10, v36, v10, s0
	;; [unrolled: 1-line block ×8, first 2 shown]
	v_alignbit_b32 v40, v10, v37, v38
	v_alignbit_b32 v36, v37, v35, v38
	;; [unrolled: 1-line block ×3, first 2 shown]
	v_cndmask_b32_e64 v10, v40, v10, s2
	v_cndmask_b32_e64 v36, v36, v37, s2
	v_cndmask_b32_e64 v32, v32, v35, s2
	v_bfe_i32 v41, v10, 29, 1
	v_alignbit_b32 v37, v10, v36, 30
	v_alignbit_b32 v33, v36, v32, 30
	;; [unrolled: 1-line block ×3, first 2 shown]
	v_lshrrev_b32_e32 v40, 29, v10
	v_lshrrev_b32_e32 v10, 30, v10
	v_xor_b32_e32 v37, v37, v41
	v_xor_b32_e32 v33, v33, v41
	;; [unrolled: 1-line block ×3, first 2 shown]
	v_add_nc_u32_e32 v90, v40, v10
	v_ffbh_u32_e32 v34, v37
	v_mul_f32_e64 v10, 0x3f22f983, |v55|
	v_min_u32_e32 v34, 32, v34
	v_rndne_f32_e32 v10, v10
	v_sub_nc_u32_e32 v35, 31, v34
	v_fma_f32 v92, 0xbfc90fda, v10, |v55|
	v_cvt_i32_f32_e32 v94, v10
	v_alignbit_b32 v36, v37, v33, v35
	v_alignbit_b32 v31, v33, v31, v35
	v_fmac_f32_e32 v92, 0xb3a22168, v10
	v_alignbit_b32 v32, v36, v31, 9
	v_fmac_f32_e32 v92, 0xa7c234c4, v10
	v_cndmask_b32_e64 v10, 0, 2, vcc_lo
	v_cmp_le_f32_e32 vcc_lo, 0, v3
	v_ffbh_u32_e32 v33, v32
	v_min_u32_e32 v33, 32, v33
	v_not_b32_e32 v35, v33
	v_add_lshl_u32 v33, v33, v34, 23
	v_lshlrev_b32_e32 v34, 23, v34
	v_alignbit_b32 v31, v32, v31, v35
	v_lshlrev_b32_e32 v32, 31, v40
	v_lshrrev_b32_e32 v31, 9, v31
	v_or_b32_e32 v35, 0x33000000, v32
	v_or_b32_e32 v32, 0.5, v32
	v_sub_nc_u32_e32 v33, v35, v33
	v_sub_nc_u32_e32 v32, v32, v34
	v_or_b32_e32 v31, v33, v31
	v_lshrrev_b32_e32 v33, 9, v36
	v_or_b32_e32 v32, v33, v32
	v_mul_f32_e32 v33, 0x3fc90fda, v32
	v_fma_f32 v34, 0x3fc90fda, v32, -v33
	v_fmac_f32_e32 v34, 0x33a22168, v32
	v_add_f32_e32 v32, v19, v19
	v_fmac_f32_e32 v34, 0x3fc90fda, v31
	v_cndmask_b32_e64 v31, 0, 1, vcc_lo
	v_cmp_gt_f32_e32 vcc_lo, 0xf800000, v20
	v_add_f32_e32 v89, v33, v34
	v_or_b32_e32 v31, v10, v31
	v_mul_f32_e32 v10, 0x4f800000, v20
	v_mul_f32_e32 v33, 0.5, v3
	v_cndmask_b32_e32 v10, v20, v10, vcc_lo
	v_sqrt_f32_e32 v34, v10
	v_add_nc_u32_e32 v35, -1, v34
	v_fma_f32 v36, -v35, v34, v10
	v_cmp_ge_f32_e64 s0, 0, v36
	v_add_nc_u32_e32 v36, 1, v34
	v_cndmask_b32_e64 v35, v34, v35, s0
	v_fma_f32 v34, -v36, v34, v10
	v_cmp_lt_f32_e64 s0, 0, v34
	v_cndmask_b32_e64 v34, v35, v36, s0
	v_mul_f32_e32 v35, 0x37800000, v34
	v_cndmask_b32_e32 v34, v34, v35, vcc_lo
	v_cmp_class_f32_e64 vcc_lo, v10, 0x260
	v_mul_f32_e32 v35, 0.5, v21
	v_cndmask_b32_e32 v34, v34, v10, vcc_lo
	v_lshrrev_b32_e32 v10, 23, v84
	v_add_nc_u32_e32 v10, 0xffffff88, v10
	v_cmp_lt_u32_e32 vcc_lo, 63, v10
	v_cndmask_b32_e64 v36, 0, 0xffffffc0, vcc_lo
	v_add_nc_u32_e32 v10, v36, v10
	v_cmp_lt_u32_e64 s0, 31, v10
	v_cndmask_b32_e64 v36, 0, 0xffffffe0, s0
	v_add_nc_u32_e32 v10, v36, v10
	v_cmp_lt_u32_e64 s1, 31, v10
	v_cndmask_b32_e64 v36, 0, 0xffffffe0, s1
	v_add_nc_u32_e32 v62, v36, v10
	v_mad_u64_u32 v[36:37], null, 0xfe5163ab, v61, 0
	v_cmp_eq_u32_e64 s2, 0, v62
	v_mov_b32_e32 v10, v37
	v_mad_u64_u32 v[37:38], null, 0x3c439041, v61, v[10:11]
	v_mov_b32_e32 v10, v38
	v_mad_u64_u32 v[40:41], null, 0xdb629599, v61, v[10:11]
	v_mov_b32_e32 v10, v41
	v_cndmask_b32_e32 v36, v40, v36, vcc_lo
	v_mad_u64_u32 v[57:58], null, 0xf534ddc0, v61, v[10:11]
	v_mov_b32_e32 v10, v58
	v_cndmask_b32_e32 v37, v57, v37, vcc_lo
	v_mad_u64_u32 v[58:59], null, 0xfc2757d1, v61, v[10:11]
	v_cndmask_b32_e64 v36, v37, v36, s0
	v_mov_b32_e32 v10, v59
	v_mad_u64_u32 v[59:60], null, 0x4e441529, v61, v[10:11]
	v_mov_b32_e32 v10, v60
	v_cndmask_b32_e32 v38, v59, v57, vcc_lo
	v_mad_u64_u32 v[60:61], null, 0xa2f9836e, v61, v[10:11]
	v_cndmask_b32_e32 v10, v60, v58, vcc_lo
	v_cndmask_b32_e32 v59, v61, v59, vcc_lo
	;; [unrolled: 1-line block ×3, first 2 shown]
	v_cndmask_b32_e64 v41, v10, v38, s0
	v_cndmask_b32_e64 v10, v59, v10, s0
	;; [unrolled: 1-line block ×3, first 2 shown]
	v_sub_nc_u32_e32 v59, 32, v62
	v_cndmask_b32_e64 v57, v58, v37, s0
	v_cndmask_b32_e64 v10, v10, v41, s1
	;; [unrolled: 1-line block ×5, first 2 shown]
	v_alignbit_b32 v60, v10, v41, v59
	v_alignbit_b32 v58, v41, v38, v59
	;; [unrolled: 1-line block ×3, first 2 shown]
	v_cndmask_b32_e64 v10, v60, v10, s2
	v_cndmask_b32_e64 v41, v58, v41, s2
	;; [unrolled: 1-line block ×3, first 2 shown]
	v_bfe_u32 v61, v10, 29, 1
	v_lshrrev_b32_e32 v60, 29, v10
	v_alignbit_b32 v58, v10, v41, 30
	v_alignbit_b32 v38, v41, v37, 30
	v_alignbit_b32 v36, v37, v36, 30
	v_sub_nc_u32_e32 v62, 0, v61
	v_lshrrev_b32_e32 v10, 30, v10
	v_xor_b32_e32 v58, v58, v62
	v_xor_b32_e32 v38, v38, v62
	;; [unrolled: 1-line block ×3, first 2 shown]
	v_add_nc_u32_e32 v93, v61, v10
	v_mul_f32_e64 v10, 0x3f22f983, |v83|
	v_ffbh_u32_e32 v40, v58
	v_rndne_f32_e32 v10, v10
	v_min_u32_e32 v40, 32, v40
	v_fma_f32 v95, 0xbfc90fda, v10, |v83|
	v_sub_nc_u32_e32 v41, 31, v40
	v_cvt_i32_f32_e32 v96, v10
	v_fmac_f32_e32 v95, 0xb3a22168, v10
	v_alignbit_b32 v57, v58, v38, v41
	v_alignbit_b32 v36, v38, v36, v41
	v_fmac_f32_e32 v95, 0xa7c234c4, v10
	v_alignbit_b32 v37, v57, v36, 9
	v_ffbh_u32_e32 v38, v37
	v_min_u32_e32 v38, 32, v38
	v_not_b32_e32 v41, v38
	v_add_lshl_u32 v38, v38, v40, 23
	v_lshlrev_b32_e32 v40, 23, v40
	v_alignbit_b32 v36, v37, v36, v41
	v_lshlrev_b32_e32 v37, 31, v60
	v_lshrrev_b32_e32 v36, 9, v36
	v_or_b32_e32 v41, 0x33000000, v37
	v_or_b32_e32 v37, 0.5, v37
	v_sub_nc_u32_e32 v38, v41, v38
	v_sub_nc_u32_e32 v37, v37, v40
	v_or_b32_e32 v36, v38, v36
	v_lshrrev_b32_e32 v38, 9, v57
	v_sub_f32_e32 v57, v21, v20
	v_or_b32_e32 v37, v38, v37
	v_and_b32_e32 v59, 0x7fffffff, v57
	v_cmp_gt_f32_e64 s10, 0x48000000, |v57|
	v_mul_f32_e32 v38, 0x3fc90fda, v37
	v_lshrrev_b32_e32 v10, 23, v59
	v_and_or_b32 v64, v59, s33, 0x800000
	v_fma_f32 v40, 0x3fc90fda, v37, -v38
	v_add_nc_u32_e32 v10, 0xffffff88, v10
	v_fmac_f32_e32 v40, 0x33a22168, v37
	v_cmp_lt_u32_e32 vcc_lo, 63, v10
	v_fmac_f32_e32 v40, 0x3fc90fda, v36
	v_cndmask_b32_e64 v36, 0, 0xffffffc0, vcc_lo
	v_add_f32_e32 v91, v38, v40
	v_add_nc_u32_e32 v10, v36, v10
	v_cmp_lt_u32_e64 s0, 31, v10
	v_cndmask_b32_e64 v36, 0, 0xffffffe0, s0
	v_add_nc_u32_e32 v10, v36, v10
	v_cmp_lt_u32_e64 s1, 31, v10
	v_cndmask_b32_e64 v36, 0, 0xffffffe0, s1
	v_add_nc_u32_e32 v58, v36, v10
	v_mad_u64_u32 v[36:37], null, 0xfe5163ab, v64, 0
	v_cmp_eq_u32_e64 s2, 0, v58
	v_sub_nc_u32_e32 v58, 32, v58
	v_mov_b32_e32 v10, v37
	v_mad_u64_u32 v[37:38], null, 0x3c439041, v64, v[10:11]
	v_mov_b32_e32 v10, v38
	v_mad_u64_u32 v[40:41], null, 0xdb629599, v64, v[10:11]
	v_mov_b32_e32 v10, v41
	v_cndmask_b32_e32 v36, v40, v36, vcc_lo
	v_mad_u64_u32 v[60:61], null, 0xf534ddc0, v64, v[10:11]
	v_mov_b32_e32 v10, v61
	v_cndmask_b32_e32 v37, v60, v37, vcc_lo
	v_mad_u64_u32 v[61:62], null, 0xfc2757d1, v64, v[10:11]
	v_cndmask_b32_e64 v36, v37, v36, s0
	v_mov_b32_e32 v10, v62
	v_mad_u64_u32 v[62:63], null, 0x4e441529, v64, v[10:11]
	v_mov_b32_e32 v10, v63
	v_cndmask_b32_e32 v38, v62, v60, vcc_lo
	v_mad_u64_u32 v[63:64], null, 0xa2f9836e, v64, v[10:11]
	v_cndmask_b32_e32 v10, v63, v61, vcc_lo
	v_cndmask_b32_e32 v62, v64, v62, vcc_lo
	;; [unrolled: 1-line block ×3, first 2 shown]
	v_cndmask_b32_e64 v41, v10, v38, s0
	v_cndmask_b32_e64 v10, v62, v10, s0
	;; [unrolled: 1-line block ×4, first 2 shown]
	v_cmp_class_f32_e64 s0, v57, 0x1f8
	v_cndmask_b32_e64 v10, v10, v41, s1
	v_cndmask_b32_e64 v41, v41, v38, s1
	;; [unrolled: 1-line block ×4, first 2 shown]
	v_alignbit_b32 v62, v10, v41, v58
	v_alignbit_b32 v61, v41, v38, v58
	;; [unrolled: 1-line block ×3, first 2 shown]
	v_cndmask_b32_e64 v10, v62, v10, s2
	v_cndmask_b32_e64 v41, v61, v41, s2
	;; [unrolled: 1-line block ×3, first 2 shown]
	v_bfe_u32 v63, v10, 29, 1
	v_alignbit_b32 v61, v10, v41, 30
	v_alignbit_b32 v38, v41, v37, 30
	;; [unrolled: 1-line block ×3, first 2 shown]
	v_lshrrev_b32_e32 v62, 29, v10
	v_sub_nc_u32_e32 v64, 0, v63
	v_lshrrev_b32_e32 v10, 30, v10
	v_xor_b32_e32 v61, v61, v64
	v_xor_b32_e32 v38, v38, v64
	;; [unrolled: 1-line block ×3, first 2 shown]
	v_add_nc_u32_e32 v86, v63, v10
	v_mul_f32_e64 v10, 0x3f22f983, |v57|
	v_ffbh_u32_e32 v40, v61
	v_rndne_f32_e32 v10, v10
	v_min_u32_e32 v40, 32, v40
	v_fma_f32 v87, 0xbfc90fda, v10, |v57|
	v_sub_nc_u32_e32 v41, 31, v40
	v_cvt_i32_f32_e32 v88, v10
	v_fmac_f32_e32 v87, 0xb3a22168, v10
	v_alignbit_b32 v58, v61, v38, v41
	v_alignbit_b32 v36, v38, v36, v41
	v_fmac_f32_e32 v87, 0xa7c234c4, v10
	v_alignbit_b32 v37, v58, v36, 9
	v_ffbh_u32_e32 v38, v37
	v_min_u32_e32 v38, 32, v38
	v_not_b32_e32 v41, v38
	v_add_lshl_u32 v38, v38, v40, 23
	v_lshlrev_b32_e32 v40, 23, v40
	v_alignbit_b32 v36, v37, v36, v41
	v_lshlrev_b32_e32 v37, 31, v62
	v_lshrrev_b32_e32 v36, 9, v36
	v_or_b32_e32 v41, 0x33000000, v37
	v_or_b32_e32 v37, 0.5, v37
	v_sub_nc_u32_e32 v38, v41, v38
	v_sub_nc_u32_e32 v37, v37, v40
	v_or_b32_e32 v36, v38, v36
	v_lshrrev_b32_e32 v38, 9, v58
	v_and_b32_e32 v58, 0x7fffffff, v20
	v_or_b32_e32 v37, v38, v37
	v_lshrrev_b32_e32 v10, 23, v58
	v_and_or_b32 v64, v58, s33, 0x800000
	v_mul_f32_e32 v38, 0x3fc90fda, v37
	v_add_nc_u32_e32 v10, 0xffffff88, v10
	v_fma_f32 v40, 0x3fc90fda, v37, -v38
	v_cmp_lt_u32_e32 vcc_lo, 63, v10
	v_fmac_f32_e32 v40, 0x33a22168, v37
	v_fmac_f32_e32 v40, 0x3fc90fda, v36
	v_cndmask_b32_e64 v36, 0, 0xffffffc0, vcc_lo
	v_add_f32_e32 v85, v38, v40
	v_add_nc_u32_e32 v10, v36, v10
	v_cmp_lt_u32_e64 s1, 31, v10
	v_cndmask_b32_e64 v36, 0, 0xffffffe0, s1
	v_add_nc_u32_e32 v10, v36, v10
	v_cmp_lt_u32_e64 s2, 31, v10
	v_cndmask_b32_e64 v36, 0, 0xffffffe0, s2
	v_add_nc_u32_e32 v65, v36, v10
	v_mad_u64_u32 v[36:37], null, 0xfe5163ab, v64, 0
	v_cmp_eq_u32_e64 s3, 0, v65
	v_mov_b32_e32 v10, v37
	v_mad_u64_u32 v[37:38], null, 0x3c439041, v64, v[10:11]
	v_mov_b32_e32 v10, v38
	v_mad_u64_u32 v[40:41], null, 0xdb629599, v64, v[10:11]
	v_mov_b32_e32 v10, v41
	v_cndmask_b32_e32 v36, v40, v36, vcc_lo
	v_mad_u64_u32 v[60:61], null, 0xf534ddc0, v64, v[10:11]
	v_mov_b32_e32 v10, v61
	v_cndmask_b32_e32 v37, v60, v37, vcc_lo
	v_mad_u64_u32 v[61:62], null, 0xfc2757d1, v64, v[10:11]
	v_cndmask_b32_e64 v36, v37, v36, s1
	v_mov_b32_e32 v10, v62
	v_mad_u64_u32 v[62:63], null, 0x4e441529, v64, v[10:11]
	v_mov_b32_e32 v10, v63
	v_cndmask_b32_e32 v38, v62, v60, vcc_lo
	v_mad_u64_u32 v[63:64], null, 0xa2f9836e, v64, v[10:11]
	v_cndmask_b32_e32 v10, v63, v61, vcc_lo
	v_cndmask_b32_e32 v62, v64, v62, vcc_lo
	;; [unrolled: 1-line block ×3, first 2 shown]
	v_cndmask_b32_e64 v41, v10, v38, s1
	v_cndmask_b32_e64 v10, v62, v10, s1
	;; [unrolled: 1-line block ×3, first 2 shown]
	v_sub_nc_u32_e32 v62, 32, v65
	v_cndmask_b32_e64 v60, v61, v37, s1
	v_cndmask_b32_e64 v10, v10, v41, s2
	;; [unrolled: 1-line block ×5, first 2 shown]
	v_alignbit_b32 v63, v10, v41, v62
	v_alignbit_b32 v61, v41, v38, v62
	;; [unrolled: 1-line block ×3, first 2 shown]
	v_cndmask_b32_e64 v10, v63, v10, s3
	v_cndmask_b32_e64 v41, v61, v41, s3
	;; [unrolled: 1-line block ×3, first 2 shown]
	v_bfe_u32 v64, v10, 29, 1
	v_lshrrev_b32_e32 v63, 29, v10
	v_alignbit_b32 v61, v10, v41, 30
	v_alignbit_b32 v38, v41, v37, 30
	;; [unrolled: 1-line block ×3, first 2 shown]
	v_sub_nc_u32_e32 v65, 0, v64
	v_lshrrev_b32_e32 v10, 30, v10
	v_xor_b32_e32 v61, v61, v65
	v_xor_b32_e32 v38, v38, v65
	;; [unrolled: 1-line block ×3, first 2 shown]
	v_ffbh_u32_e32 v40, v61
	v_min_u32_e32 v40, 32, v40
	v_sub_nc_u32_e32 v41, 31, v40
	v_alignbit_b32 v60, v61, v38, v41
	v_alignbit_b32 v36, v38, v36, v41
	v_add_nc_u32_e32 v61, v64, v10
	v_mul_f32_e64 v10, 0x3f22f983, |v20|
	v_alignbit_b32 v37, v60, v36, 9
	v_rndne_f32_e32 v10, v10
	v_ffbh_u32_e32 v38, v37
	v_fma_f32 v62, 0xbfc90fda, v10, |v20|
	v_cvt_i32_f32_e32 v80, v10
	v_min_u32_e32 v38, 32, v38
	v_fmac_f32_e32 v62, 0xb3a22168, v10
	v_not_b32_e32 v41, v38
	v_add_lshl_u32 v38, v38, v40, 23
	v_lshlrev_b32_e32 v40, 23, v40
	v_fmac_f32_e32 v62, 0xa7c234c4, v10
	v_div_scale_f32 v10, null, 0x40490fdb, 0x40490fdb, v21
	v_alignbit_b32 v36, v37, v36, v41
	v_lshlrev_b32_e32 v37, 31, v63
	v_mul_f32_e32 v63, 0x40490fdb, v20
	v_lshrrev_b32_e32 v36, 9, v36
	v_or_b32_e32 v41, 0x33000000, v37
	v_or_b32_e32 v37, 0.5, v37
	v_and_b32_e32 v64, 0x7fffffff, v63
	v_cmp_gt_f32_e64 s1, 0x48000000, |v63|
	v_sub_nc_u32_e32 v38, v41, v38
	v_sub_nc_u32_e32 v37, v37, v40
	v_and_or_b32 v70, v64, s33, 0x800000
	v_or_b32_e32 v36, v38, v36
	v_lshrrev_b32_e32 v38, 9, v60
	v_or_b32_e32 v37, v38, v37
	v_mul_f32_e32 v38, 0x3fc90fda, v37
	v_fma_f32 v40, 0x3fc90fda, v37, -v38
	v_fmac_f32_e32 v40, 0x33a22168, v37
	v_fmac_f32_e32 v40, 0x3fc90fda, v36
	v_rcp_f32_e32 v36, v10
	v_add_f32_e32 v60, v38, v40
	v_fma_f32 v37, -v10, v36, 1.0
	v_fmac_f32_e32 v36, v37, v36
	v_div_scale_f32 v37, vcc_lo, v21, 0x40490fdb, v21
	v_mul_f32_e32 v38, v37, v36
	v_fma_f32 v40, -v10, v38, v37
	v_fmac_f32_e32 v38, v40, v36
	v_fma_f32 v10, -v10, v38, v37
	v_div_fmas_f32 v10, v10, v36, v38
	v_div_fixup_f32 v36, v10, 0x40490fdb, v21
	v_lshrrev_b32_e32 v10, 23, v64
	v_add_nc_u32_e32 v10, 0xffffff88, v10
	v_cmp_lt_u32_e32 vcc_lo, 63, v10
	v_cndmask_b32_e64 v37, 0, 0xffffffc0, vcc_lo
	v_add_nc_u32_e32 v10, v37, v10
	v_cmp_lt_u32_e64 s2, 31, v10
	v_cndmask_b32_e64 v37, 0, 0xffffffe0, s2
	v_add_nc_u32_e32 v10, v37, v10
	v_cmp_lt_u32_e64 s3, 31, v10
	v_cndmask_b32_e64 v37, 0, 0xffffffe0, s3
	v_add_nc_u32_e32 v71, v37, v10
	v_mad_u64_u32 v[37:38], null, 0xfe5163ab, v70, 0
	v_cmp_eq_u32_e64 s4, 0, v71
	v_mov_b32_e32 v10, v38
	v_mad_u64_u32 v[40:41], null, 0x3c439041, v70, v[10:11]
	v_mov_b32_e32 v10, v41
	v_mad_u64_u32 v[65:66], null, 0xdb629599, v70, v[10:11]
	v_mov_b32_e32 v10, v66
	v_cndmask_b32_e32 v37, v65, v37, vcc_lo
	v_mad_u64_u32 v[66:67], null, 0xf534ddc0, v70, v[10:11]
	v_mov_b32_e32 v10, v67
	v_cndmask_b32_e32 v40, v66, v40, vcc_lo
	v_mad_u64_u32 v[67:68], null, 0xfc2757d1, v70, v[10:11]
	v_cndmask_b32_e64 v37, v40, v37, s2
	v_mov_b32_e32 v10, v68
	v_mad_u64_u32 v[68:69], null, 0x4e441529, v70, v[10:11]
	v_mov_b32_e32 v10, v69
	v_cndmask_b32_e32 v38, v68, v66, vcc_lo
	v_mad_u64_u32 v[69:70], null, 0xa2f9836e, v70, v[10:11]
	v_cndmask_b32_e32 v10, v69, v67, vcc_lo
	v_cndmask_b32_e32 v68, v70, v68, vcc_lo
	;; [unrolled: 1-line block ×3, first 2 shown]
	v_cndmask_b32_e64 v41, v10, v38, s2
	v_cndmask_b32_e64 v10, v68, v10, s2
	;; [unrolled: 1-line block ×3, first 2 shown]
	v_sub_nc_u32_e32 v68, 32, v71
	v_cndmask_b32_e64 v66, v67, v40, s2
	v_cmp_class_f32_e64 s2, v63, 0x1f8
	v_cndmask_b32_e64 v10, v10, v41, s3
	v_cndmask_b32_e64 v41, v41, v38, s3
	;; [unrolled: 1-line block ×4, first 2 shown]
	v_alignbit_b32 v69, v10, v41, v68
	v_alignbit_b32 v67, v41, v38, v68
	;; [unrolled: 1-line block ×3, first 2 shown]
	v_cndmask_b32_e64 v10, v69, v10, s4
	v_cndmask_b32_e64 v41, v67, v41, s4
	;; [unrolled: 1-line block ×3, first 2 shown]
	v_bfe_u32 v70, v10, 29, 1
	v_lshrrev_b32_e32 v69, 29, v10
	v_alignbit_b32 v67, v10, v41, 30
	v_alignbit_b32 v40, v41, v38, 30
	v_alignbit_b32 v37, v38, v37, 30
	v_sub_nc_u32_e32 v71, 0, v70
	v_lshrrev_b32_e32 v10, 30, v10
	v_xor_b32_e32 v67, v67, v71
	v_xor_b32_e32 v40, v40, v71
	;; [unrolled: 1-line block ×3, first 2 shown]
	v_add_nc_u32_e32 v68, v70, v10
	v_mul_f32_e64 v10, 0x3f22f983, |v63|
	v_ffbh_u32_e32 v41, v67
	v_rndne_f32_e32 v10, v10
	v_min_u32_e32 v41, 32, v41
	v_cvt_i32_f32_e32 v70, v10
	v_sub_nc_u32_e32 v65, 31, v41
	v_cndmask_b32_e64 v68, v68, v70, s1
	v_alignbit_b32 v66, v67, v40, v65
	v_alignbit_b32 v37, v40, v37, v65
	;; [unrolled: 1-line block ×3, first 2 shown]
	v_ffbh_u32_e32 v40, v38
	v_min_u32_e32 v40, 32, v40
	v_not_b32_e32 v65, v40
	v_add_lshl_u32 v40, v40, v41, 23
	v_lshlrev_b32_e32 v41, 23, v41
	v_alignbit_b32 v37, v38, v37, v65
	v_lshlrev_b32_e32 v38, 31, v69
	v_fma_f32 v69, 0xbfc90fda, v10, |v63|
	v_lshrrev_b32_e32 v37, 9, v37
	v_or_b32_e32 v65, 0x33000000, v38
	v_or_b32_e32 v38, 0.5, v38
	v_fmac_f32_e32 v69, 0xb3a22168, v10
	v_sub_nc_u32_e32 v40, v65, v40
	v_sub_nc_u32_e32 v38, v38, v41
	v_mul_f32_e32 v65, v20, v21
	v_fmac_f32_e32 v69, 0xa7c234c4, v10
	v_or_b32_e32 v37, v40, v37
	v_lshrrev_b32_e32 v40, 9, v66
	v_and_b32_e32 v66, 0x7fffffff, v65
	v_cmp_gt_f32_e64 s3, 0x48000000, |v65|
	v_or_b32_e32 v38, v40, v38
	v_lshrrev_b32_e32 v10, 23, v66
	v_and_or_b32 v76, v66, s33, 0x800000
	v_mul_f32_e32 v40, 0x3fc90fda, v38
	v_add_nc_u32_e32 v10, 0xffffff88, v10
	v_fma_f32 v41, 0x3fc90fda, v38, -v40
	v_cmp_lt_u32_e32 vcc_lo, 63, v10
	v_fmac_f32_e32 v41, 0x33a22168, v38
	v_fmac_f32_e32 v41, 0x3fc90fda, v37
	v_cndmask_b32_e64 v37, 0, 0xffffffc0, vcc_lo
	v_add_f32_e32 v67, v40, v41
	v_add_nc_u32_e32 v10, v37, v10
	v_cndmask_b32_e64 v67, v67, v69, s1
	v_cmp_lt_u32_e64 s4, 31, v10
	v_mul_f32_e32 v69, v67, v67
	v_cndmask_b32_e64 v37, 0, 0xffffffe0, s4
	v_add_nc_u32_e32 v10, v37, v10
	v_cmp_lt_u32_e64 s5, 31, v10
	v_cndmask_b32_e64 v37, 0, 0xffffffe0, s5
	v_add_nc_u32_e32 v77, v37, v10
	v_mad_u64_u32 v[37:38], null, 0xfe5163ab, v76, 0
	v_cmp_eq_u32_e64 s6, 0, v77
	v_mov_b32_e32 v10, v38
	v_mad_u64_u32 v[40:41], null, 0x3c439041, v76, v[10:11]
	v_mov_b32_e32 v10, v41
	v_mad_u64_u32 v[71:72], null, 0xdb629599, v76, v[10:11]
	v_mov_b32_e32 v10, v72
	v_cndmask_b32_e32 v37, v71, v37, vcc_lo
	v_mad_u64_u32 v[72:73], null, 0xf534ddc0, v76, v[10:11]
	v_mov_b32_e32 v10, v73
	v_cndmask_b32_e32 v40, v72, v40, vcc_lo
	v_mad_u64_u32 v[73:74], null, 0xfc2757d1, v76, v[10:11]
	v_cndmask_b32_e64 v37, v40, v37, s4
	v_mov_b32_e32 v10, v74
	v_mad_u64_u32 v[74:75], null, 0x4e441529, v76, v[10:11]
	v_mov_b32_e32 v10, v75
	v_cndmask_b32_e32 v38, v74, v72, vcc_lo
	v_mad_u64_u32 v[75:76], null, 0xa2f9836e, v76, v[10:11]
	v_cndmask_b32_e32 v10, v75, v73, vcc_lo
	v_cndmask_b32_e32 v74, v76, v74, vcc_lo
	;; [unrolled: 1-line block ×3, first 2 shown]
	v_cndmask_b32_e64 v41, v10, v38, s4
	v_cndmask_b32_e64 v10, v74, v10, s4
	;; [unrolled: 1-line block ×3, first 2 shown]
	v_sub_nc_u32_e32 v74, 32, v77
	v_cndmask_b32_e64 v72, v73, v40, s4
	v_cmp_class_f32_e64 s4, v65, 0x1f8
	v_cndmask_b32_e64 v10, v10, v41, s5
	v_cndmask_b32_e64 v41, v41, v38, s5
	;; [unrolled: 1-line block ×4, first 2 shown]
	v_cmp_gt_f32_e64 s5, 0x48000000, |v0|
	v_alignbit_b32 v75, v10, v41, v74
	v_alignbit_b32 v73, v41, v38, v74
	;; [unrolled: 1-line block ×3, first 2 shown]
	v_cndmask_b32_e64 v10, v75, v10, s6
	v_cndmask_b32_e64 v41, v73, v41, s6
	;; [unrolled: 1-line block ×3, first 2 shown]
	v_bfe_u32 v76, v10, 29, 1
	v_lshrrev_b32_e32 v75, 29, v10
	v_alignbit_b32 v73, v10, v41, 30
	v_alignbit_b32 v40, v41, v38, 30
	;; [unrolled: 1-line block ×3, first 2 shown]
	v_sub_nc_u32_e32 v77, 0, v76
	v_lshrrev_b32_e32 v10, 30, v10
	v_xor_b32_e32 v73, v73, v77
	v_xor_b32_e32 v40, v40, v77
	;; [unrolled: 1-line block ×3, first 2 shown]
	v_ffbh_u32_e32 v41, v73
	v_min_u32_e32 v41, 32, v41
	v_sub_nc_u32_e32 v71, 31, v41
	v_alignbit_b32 v72, v73, v40, v71
	v_alignbit_b32 v37, v40, v37, v71
	v_add_nc_u32_e32 v73, v76, v10
	v_mul_f32_e64 v10, 0x3f22f983, |v65|
	v_alignbit_b32 v38, v72, v37, 9
	v_rndne_f32_e32 v10, v10
	v_ffbh_u32_e32 v40, v38
	v_fma_f32 v74, 0xbfc90fda, v10, |v65|
	v_min_u32_e32 v40, 32, v40
	v_fmac_f32_e32 v74, 0xb3a22168, v10
	v_not_b32_e32 v71, v40
	v_add_lshl_u32 v40, v40, v41, 23
	v_lshlrev_b32_e32 v41, 23, v41
	v_fmac_f32_e32 v74, 0xa7c234c4, v10
	v_alignbit_b32 v37, v38, v37, v71
	v_lshlrev_b32_e32 v38, 31, v75
	v_cvt_i32_f32_e32 v75, v10
	v_sub_f32_e32 v10, v19, v3
	v_lshrrev_b32_e32 v37, 9, v37
	v_or_b32_e32 v71, 0x33000000, v38
	v_or_b32_e32 v38, 0.5, v38
	v_sub_nc_u32_e32 v40, v71, v40
	v_sub_nc_u32_e32 v38, v38, v41
	v_and_b32_e32 v71, 0x7fffffff, v0
	v_or_b32_e32 v37, v40, v37
	v_lshrrev_b32_e32 v40, 9, v72
	v_and_or_b32 v122, v71, s33, 0x800000
	v_or_b32_e32 v38, v40, v38
	v_mul_f32_e32 v40, 0x3fc90fda, v38
	v_fma_f32 v41, 0x3fc90fda, v38, -v40
	v_fmac_f32_e32 v41, 0x33a22168, v38
	v_add_f32_e32 v38, v19, v3
	v_fmac_f32_e32 v41, 0x3fc90fda, v37
	v_mul_f32_e32 v10, v10, v38
	v_add_f32_e32 v37, -1.0, v20
	v_add_f32_e32 v72, v40, v41
	v_mul_f32_e32 v38, v10, v39
	v_mul_f32_e32 v10, v32, v3
	;; [unrolled: 1-line block ×3, first 2 shown]
	v_lshrrev_b32_e32 v10, 23, v71
	v_add_nc_u32_e32 v10, 0xffffff88, v10
	v_cmp_lt_u32_e32 vcc_lo, 63, v10
	v_cndmask_b32_e64 v40, 0, 0xffffffc0, vcc_lo
	v_add_nc_u32_e32 v10, v40, v10
	v_cmp_lt_u32_e64 s6, 31, v10
	v_cndmask_b32_e64 v40, 0, 0xffffffe0, s6
	v_add_nc_u32_e32 v10, v40, v10
	v_cmp_lt_u32_e64 s26, 31, v10
	v_cndmask_b32_e64 v40, 0, 0xffffffe0, s26
	v_add_nc_u32_e32 v123, v40, v10
	v_mad_u64_u32 v[40:41], null, 0xfe5163ab, v122, 0
	v_cmp_eq_u32_e64 s27, 0, v123
	v_mov_b32_e32 v10, v41
	v_mad_u64_u32 v[76:77], null, 0x3c439041, v122, v[10:11]
	v_mov_b32_e32 v10, v77
	v_mad_u64_u32 v[77:78], null, 0xdb629599, v122, v[10:11]
	v_mov_b32_e32 v10, v78
	v_cndmask_b32_e32 v40, v77, v40, vcc_lo
	v_mad_u64_u32 v[78:79], null, 0xf534ddc0, v122, v[10:11]
	v_mov_b32_e32 v10, v79
	v_cndmask_b32_e32 v76, v78, v76, vcc_lo
	v_mad_u64_u32 v[119:120], null, 0xfc2757d1, v122, v[10:11]
	v_cndmask_b32_e64 v40, v76, v40, s6
	v_mov_b32_e32 v10, v120
	v_mad_u64_u32 v[120:121], null, 0x4e441529, v122, v[10:11]
	v_mov_b32_e32 v10, v121
	v_cndmask_b32_e32 v41, v120, v78, vcc_lo
	v_mad_u64_u32 v[121:122], null, 0xa2f9836e, v122, v[10:11]
	v_cndmask_b32_e32 v10, v121, v119, vcc_lo
	v_cndmask_b32_e32 v120, v122, v120, vcc_lo
	;; [unrolled: 1-line block ×3, first 2 shown]
	v_cndmask_b32_e64 v79, v10, v41, s6
	v_cndmask_b32_e64 v10, v120, v10, s6
	v_cndmask_b32_e64 v41, v41, v119, s6
	v_sub_nc_u32_e32 v120, 32, v123
	v_cndmask_b32_e64 v78, v119, v76, s6
	v_cmp_class_f32_e64 s6, v0, 0x1f8
	v_cndmask_b32_e64 v10, v10, v79, s26
	v_cndmask_b32_e64 v79, v79, v41, s26
	v_cndmask_b32_e64 v41, v41, v78, s26
	v_cndmask_b32_e64 v40, v78, v40, s26
	v_alignbit_b32 v121, v10, v79, v120
	v_alignbit_b32 v119, v79, v41, v120
	;; [unrolled: 1-line block ×3, first 2 shown]
	v_cndmask_b32_e64 v10, v121, v10, s27
	v_cndmask_b32_e64 v79, v119, v79, s27
	;; [unrolled: 1-line block ×3, first 2 shown]
	s_mov_b32 s27, 0xb94c1982
	v_bfe_u32 v122, v10, 29, 1
	v_lshrrev_b32_e32 v121, 29, v10
	v_alignbit_b32 v119, v10, v79, 30
	v_alignbit_b32 v76, v79, v41, 30
	;; [unrolled: 1-line block ×3, first 2 shown]
	v_sub_nc_u32_e32 v123, 0, v122
	v_lshrrev_b32_e32 v10, 30, v10
	v_fmaak_f32 v70, s27, v69, 0x3c0881c4
	v_xor_b32_e32 v119, v119, v123
	v_xor_b32_e32 v76, v76, v123
	;; [unrolled: 1-line block ×3, first 2 shown]
	v_fmaak_f32 v70, v69, v70, 0xbe2aaa9d
	v_ffbh_u32_e32 v77, v119
	v_mul_f32_e32 v70, v69, v70
	v_min_u32_e32 v77, 32, v77
	v_fmac_f32_e32 v67, v67, v70
	v_fmaak_f32 v70, s34, v69, 0xbab64f3b
	v_sub_nc_u32_e32 v78, 31, v77
	v_fmaak_f32 v70, v69, v70, 0x3d2aabf7
	v_alignbit_b32 v79, v119, v76, v78
	v_alignbit_b32 v40, v76, v40, v78
	v_fmaak_f32 v70, v69, v70, 0xbf000004
	v_alignbit_b32 v41, v79, v40, 9
	v_fma_f32 v69, v69, v70, 1.0
	v_and_b32_e32 v70, 1, v68
	v_ffbh_u32_e32 v76, v41
	v_lshlrev_b32_e32 v68, 30, v68
	v_min_u32_e32 v76, 32, v76
	v_and_b32_e32 v68, 0x80000000, v68
	v_not_b32_e32 v78, v76
	v_add_lshl_u32 v76, v76, v77, 23
	v_lshlrev_b32_e32 v77, 23, v77
	v_alignbit_b32 v40, v41, v40, v78
	v_lshlrev_b32_e32 v41, 31, v121
	v_lshrrev_b32_e32 v40, 9, v40
	v_or_b32_e32 v78, 0x33000000, v41
	v_or_b32_e32 v41, 0.5, v41
	v_sub_nc_u32_e32 v76, v78, v76
	v_sub_nc_u32_e32 v41, v41, v77
	v_or_b32_e32 v40, v76, v40
	v_lshrrev_b32_e32 v76, 9, v79
	v_or_b32_e32 v41, v76, v41
	v_mul_f32_e32 v76, 0x3fc90fda, v41
	v_fma_f32 v77, 0x3fc90fda, v41, -v76
	v_fmac_f32_e32 v77, 0x33a22168, v41
	v_fmac_f32_e32 v77, 0x3fc90fda, v40
	v_add_f32_e32 v76, v76, v77
	v_add_nc_u32_e32 v77, v122, v10
	v_mul_f32_e64 v10, 0x3f22f983, |v0|
	v_rndne_f32_e32 v10, v10
	v_fma_f32 v78, 0xbfc90fda, v10, |v0|
	v_cvt_i32_f32_e32 v79, v10
	v_fmac_f32_e32 v78, 0xb3a22168, v10
	v_fmac_f32_e32 v78, 0xa7c234c4, v10
	v_div_scale_f32 v10, null, v0, v0, v19
	v_rcp_f32_e32 v40, v10
	v_fma_f32 v41, -v10, v40, 1.0
	v_fmac_f32_e32 v40, v41, v40
	v_div_scale_f32 v41, vcc_lo, v19, v0, v19
	v_mul_f32_e32 v119, v41, v40
	v_fma_f32 v120, -v10, v119, v41
	v_fmac_f32_e32 v119, v120, v40
	v_fma_f32 v10, -v10, v119, v41
	v_div_fmas_f32 v10, v10, v40, v119
	v_div_fixup_f32 v40, v10, v0, v19
	v_div_scale_f32 v10, null, v0, v0, v3
	v_rcp_f32_e32 v41, v10
	v_fma_f32 v119, -v10, v41, 1.0
	v_fmac_f32_e32 v41, v119, v41
	v_div_scale_f32 v119, vcc_lo, v3, v0, v3
	v_mul_f32_e32 v120, v119, v41
	v_fma_f32 v121, -v10, v120, v119
	v_fmac_f32_e32 v120, v121, v41
	v_fma_f32 v10, -v10, v120, v119
	v_div_fmas_f32 v10, v10, v41, v120
	v_div_fixup_f32 v41, v10, v0, v3
	v_cndmask_b32_e64 v10, v43, v45, s16
	v_cndmask_b32_e64 v43, v44, v47, s16
	v_mul_f32_e32 v44, v10, v10
	v_fmaak_f32 v45, s27, v44, 0x3c0881c4
	v_fmaak_f32 v45, v44, v45, 0xbe2aaa9d
	v_mul_f32_e32 v45, v44, v45
	v_fmac_f32_e32 v10, v10, v45
	v_fmaak_f32 v45, s34, v44, 0xbab64f3b
	v_fmaak_f32 v45, v44, v45, 0x3d2aabf7
	;; [unrolled: 1-line block ×3, first 2 shown]
	v_fma_f32 v45, v44, v45, 1.0
	v_and_b32_e32 v44, 1, v43
	v_lshlrev_b32_e32 v43, 30, v43
	v_cmp_eq_u32_e64 s16, 0, v44
	v_and_b32_e32 v47, 0x80000000, v43
	v_cndmask_b32_e64 v43, v51, v48, s18
	v_cndmask_b32_e64 v48, v49, v48, s18
	;; [unrolled: 1-line block ×3, first 2 shown]
	v_or_b32_e32 v42, v47, v42
	v_and_b32_e32 v119, 1, v43
	v_lshlrev_b32_e32 v43, 30, v43
	v_and_b32_e32 v48, 1, v48
	v_cndmask_b32_e64 v10, -v10, v45, s16
	v_xor3_b32 v42, v42, v19, v44
	v_cndmask_b32_e64 v44, v50, v52, s18
	v_cmp_eq_u32_e64 s26, 0, v119
	v_and_b32_e32 v120, 0x80000000, v43
	v_xor_b32_e32 v10, v47, v10
	v_cndmask_b32_e64 v42, 0x7fc00000, v42, s17
	v_mul_f32_e32 v50, v44, v44
	v_cndmask_b32_e64 v47, v101, v103, s20
	v_cndmask_b32_e64 v45, 0x7fc00000, v10, s17
	v_fmaak_f32 v51, s27, v50, 0x3c0881c4
	v_fmaak_f32 v52, s34, v50, 0xbab64f3b
	;; [unrolled: 1-line block ×5, first 2 shown]
	v_mul_f32_e32 v51, v50, v51
	v_fmaak_f32 v52, v50, v52, 0xbf000004
	v_fma_f32 v51, v44, v51, v44
	v_fma_f32 v52, v50, v52, 1.0
	v_cndmask_b32_e64 v119, -v51, v52, s26
	v_cndmask_b32_e64 v10, v52, v51, s26
	v_xor_b32_e32 v43, v120, v119
	v_cndmask_b32_e64 v43, 0x7fc00000, v43, s19
	v_div_scale_f32 v119, null, v43, v43, v42
	v_rcp_f32_e32 v121, v119
	v_fma_f32 v122, -v119, v121, 1.0
	v_fmac_f32_e32 v121, v122, v121
	v_div_scale_f32 v122, vcc_lo, v42, v43, v42
	v_mul_f32_e32 v123, v122, v121
	v_fma_f32 v124, -v119, v123, v122
	v_fmac_f32_e32 v123, v124, v121
	v_fma_f32 v119, -v119, v123, v122
	v_div_fmas_f32 v119, v119, v121, v123
	v_cmp_eq_u32_e32 vcc_lo, 0, v48
	v_div_fixup_f32 v43, v119, v43, v42
	v_fmaak_f32 v119, s36, v50, 0xbf039337
	v_fmaak_f32 v119, v50, v119, 0x3f93f425
	v_rcp_f32_e32 v119, v119
	v_mul_f32_e32 v49, v49, v119
	v_mul_f32_e32 v49, v50, v49
	v_fma_f32 v50, v49, v44, v44
	v_sub_f32_e32 v119, v50, v44
	v_fma_f32 v44, v49, v44, -v119
	v_rcp_f32_e32 v49, v50
	v_fma_f32 v119, v50, -v49, 1.0
	v_fma_f32 v44, v44, -v49, v119
	v_fma_f32 v44, v44, -v49, -v49
	v_cndmask_b32_e32 v44, v44, v50, vcc_lo
	v_cndmask_b32_e64 v50, v107, v109, s22
	v_xor3_b32 v44, v3, v44, v46
	v_or_b32_e32 v46, v120, v46
	v_mul_f32_e32 v52, v50, v50
	v_cndmask_b32_e64 v44, 0x7fc00000, v44, s19
	v_xor3_b32 v10, v46, v10, v3
	v_cndmask_b32_e64 v46, 0x7fc00000, v10, s19
	v_cndmask_b32_e64 v10, v54, v102, s20
	v_fmaak_f32 v54, s27, v52, 0x3c0881c4
	s_mov_b32 s19, 0x3e76c4e1
	v_mul_f32_e32 v48, v10, v10
	v_fmaak_f32 v54, v52, v54, 0xbe2aaa9d
	v_fmaak_f32 v49, s27, v48, 0x3c0881c4
	v_mul_f32_e32 v54, v52, v54
	v_fmaak_f32 v49, v48, v49, 0xbe2aaa9d
	v_fmac_f32_e32 v50, v50, v54
	v_fmaak_f32 v54, s34, v52, 0xbab64f3b
	v_mul_f32_e32 v49, v48, v49
	v_fmaak_f32 v54, v52, v54, 0x3d2aabf7
	v_fmac_f32_e32 v10, v10, v49
	v_fmaak_f32 v49, s34, v48, 0xbab64f3b
	v_fmaak_f32 v54, v52, v54, 0xbf000004
	;; [unrolled: 1-line block ×3, first 2 shown]
	v_fma_f32 v52, v52, v54, 1.0
	v_fmaak_f32 v49, v48, v49, 0xbf000004
	v_fma_f32 v48, v48, v49, 1.0
	v_and_b32_e32 v49, 1, v47
	v_lshlrev_b32_e32 v47, 30, v47
	v_cmp_eq_u32_e32 vcc_lo, 0, v49
	v_and_b32_e32 v51, 0x80000000, v47
	v_cndmask_b32_e64 v49, -v10, v48, vcc_lo
	v_cndmask_b32_e32 v10, v48, v10, vcc_lo
	v_xor_b32_e32 v47, v51, v49
	v_xor_b32_e32 v48, v10, v21
	v_cndmask_b32_e64 v49, v108, v110, s22
	v_cndmask_b32_e64 v47, 0x7fc00000, v47, s21
	v_xor3_b32 v48, v48, v53, v51
	v_and_b32_e32 v54, 1, v49
	v_or_b32_e32 v51, v51, v53
	v_lshlrev_b32_e32 v49, 30, v49
	v_cndmask_b32_e64 v48, 0x7fc00000, v48, s21
	v_cmp_eq_u32_e32 vcc_lo, 0, v54
	v_xor3_b32 v10, v51, v21, v10
	v_and_b32_e32 v101, 0x80000000, v49
	v_cndmask_b32_e64 v54, -v50, v52, vcc_lo
	v_cndmask_b32_e32 v50, v52, v50, vcc_lo
	v_cndmask_b32_e64 v10, 0x7fc00000, v10, s21
	v_cmp_neq_f32_e32 vcc_lo, 1.0, v20
	v_xor_b32_e32 v49, v101, v54
	v_xor_b32_e32 v50, v104, v50
	v_cndmask_b32_e32 v53, 1.0, v10, vcc_lo
	v_cndmask_b32_e64 v49, 0x7fc00000, v49, s23
	v_xor3_b32 v50, v50, v105, v101
	v_cmp_neq_f32_e32 vcc_lo, 0, v53
	v_cmp_neq_f32_e64 s17, v53, |v53|
	v_mul_f32_e32 v49, v49, v111
	v_cndmask_b32_e64 v50, 0xffc00000, -v50, s23
	v_cndmask_b32_e32 v54, 1.0, v20, vcc_lo
	v_mul_f32_e32 v50, v50, v112
	v_frexp_mant_f32_e64 v51, |v54|
	v_cmp_lt_f32_e64 s18, |v54|, 1.0
	v_cmp_gt_f32_e32 vcc_lo, 0x3f2aaaab, v51
	s_xor_b32 s17, s17, s18
	v_cmp_gt_f32_e64 s18, 0, v53
	v_cndmask_b32_e64 v52, 1.0, 2.0, vcc_lo
	v_mul_f32_e32 v51, v51, v52
	v_add_f32_e32 v101, 1.0, v51
	v_add_f32_e32 v52, -1.0, v51
	v_add_f32_e32 v102, -1.0, v101
	v_sub_f32_e32 v51, v51, v102
	v_rcp_f32_e32 v102, v101
	v_mul_f32_e32 v103, v52, v102
	v_mul_f32_e32 v104, v101, v103
	v_fma_f32 v101, v103, v101, -v104
	v_fmac_f32_e32 v101, v103, v51
	v_add_f32_e32 v51, v104, v101
	v_sub_f32_e32 v105, v52, v51
	v_sub_f32_e32 v104, v51, v104
	;; [unrolled: 1-line block ×5, first 2 shown]
	v_add_f32_e32 v51, v52, v51
	v_add_f32_e32 v51, v105, v51
	v_mul_f32_e32 v51, v102, v51
	v_add_f32_e32 v101, v103, v51
	v_sub_f32_e32 v52, v101, v103
	v_sub_f32_e32 v102, v51, v52
	v_mul_f32_e32 v51, v101, v101
	v_add_f32_e32 v103, v102, v102
	v_fma_f32 v52, v101, v101, -v51
	v_fmac_f32_e32 v52, v101, v103
	v_add_f32_e32 v103, v51, v52
	v_sub_f32_e32 v51, v103, v51
	v_fmaak_f32 v104, s19, v103, 0x3e91f4c4
	v_sub_f32_e32 v51, v52, v51
	v_mul_f32_e32 v52, v101, v103
	v_fmaak_f32 v104, v103, v104, 0x3ecccdef
	v_fma_f32 v105, v103, v101, -v52
	v_fmac_f32_e32 v105, v103, v102
	v_fmac_f32_e32 v105, v51, v101
	v_ldexp_f32 v101, v101, 1
	v_add_f32_e32 v107, v52, v105
	v_sub_f32_e32 v52, v107, v52
	v_sub_f32_e32 v52, v105, v52
	v_mul_f32_e32 v105, v103, v104
	v_fma_f32 v103, v103, v104, -v105
	v_fmac_f32_e32 v103, v51, v104
	v_add_f32_e32 v51, v105, v103
	v_add_f32_e32 v104, 0x3f2aaaaa, v51
	v_sub_f32_e32 v105, v51, v105
	v_sub_f32_e32 v103, v103, v105
	v_add_f32_e32 v105, 0xbf2aaaaa, v104
	v_add_f32_e32 v103, 0x31739010, v103
	v_sub_f32_e32 v51, v51, v105
	v_add_f32_e32 v51, v103, v51
	v_add_f32_e32 v103, v104, v51
	v_sub_f32_e32 v104, v104, v103
	v_add_f32_e32 v51, v51, v104
	v_mul_f32_e32 v104, v107, v103
	v_fma_f32 v105, v107, v103, -v104
	v_fmac_f32_e32 v105, v107, v51
	v_fmac_f32_e32 v105, v52, v103
	v_cvt_f64_f32_e64 v[51:52], |v54|
	v_frexp_exp_i32_f64_e32 v51, v[51:52]
	v_subrev_co_ci_u32_e64 v51, null, 0, v51, vcc_lo
	v_cvt_f32_i32_e32 v51, v51
	v_mul_f32_e32 v52, 0x3f317218, v51
	v_fma_f32 v103, 0x3f317218, v51, -v52
	v_fmac_f32_e32 v103, 0xb102e308, v51
	v_ldexp_f32 v51, v102, 1
	v_add_f32_e32 v102, v52, v103
	v_sub_f32_e32 v52, v102, v52
	v_sub_f32_e32 v52, v103, v52
	v_add_f32_e32 v103, v104, v105
	v_sub_f32_e32 v104, v103, v104
	v_sub_f32_e32 v104, v105, v104
	v_add_f32_e32 v105, v101, v103
	v_add_f32_e32 v51, v51, v104
	v_sub_f32_e32 v101, v105, v101
	v_sub_f32_e32 v101, v103, v101
	v_add_f32_e32 v51, v51, v101
	;; [unrolled: 4-line block ×3, first 2 shown]
	v_sub_f32_e32 v104, v103, v102
	v_sub_f32_e32 v105, v103, v104
	;; [unrolled: 1-line block ×4, first 2 shown]
	v_add_f32_e32 v101, v101, v102
	v_add_f32_e32 v102, v52, v51
	v_sub_f32_e32 v104, v102, v52
	v_sub_f32_e32 v105, v102, v104
	;; [unrolled: 1-line block ×4, first 2 shown]
	v_add_f32_e32 v51, v51, v52
	v_add_f32_e32 v52, v102, v101
	;; [unrolled: 1-line block ×3, first 2 shown]
	v_sub_f32_e32 v102, v101, v103
	v_sub_f32_e32 v52, v52, v102
	v_add_f32_e32 v51, v51, v52
	v_add_f32_e32 v52, v101, v51
	v_sub_f32_e32 v101, v52, v101
	v_sub_f32_e32 v51, v51, v101
	v_mul_f32_e32 v101, v53, v52
	v_fma_f32 v52, v53, v52, -v101
	v_cmp_class_f32_e64 vcc_lo, v101, 0x204
	v_fmac_f32_e32 v52, v53, v51
	v_add_f32_e32 v51, v101, v52
	v_sub_f32_e32 v102, v51, v101
	v_cndmask_b32_e32 v51, v51, v101, vcc_lo
	v_sub_f32_e32 v52, v52, v102
	v_cmp_neq_f32_e64 vcc_lo, 0x7f800000, |v51|
	v_cndmask_b32_e32 v52, 0, v52, vcc_lo
	v_cmp_eq_f32_e32 vcc_lo, 0x42b17218, v51
	v_cndmask_b32_e64 v101, 0, 0x37000000, vcc_lo
	v_sub_f32_e32 v51, v51, v101
	v_add_f32_e32 v52, v101, v52
	v_mul_f32_e32 v101, 0x3fb8aa3b, v51
	v_cmp_ngt_f32_e32 vcc_lo, 0xc2ce8ed0, v51
	v_fma_f32 v102, 0x3fb8aa3b, v51, -v101
	v_rndne_f32_e32 v103, v101
	v_fmac_f32_e32 v102, 0x32a5705f, v51
	v_sub_f32_e32 v101, v101, v103
	v_add_f32_e32 v101, v101, v102
	v_cvt_i32_f32_e32 v102, v103
	v_exp_f32_e32 v101, v101
	v_ldexp_f32 v101, v101, v102
	v_cndmask_b32_e32 v101, 0, v101, vcc_lo
	v_cmp_nlt_f32_e32 vcc_lo, 0x42b17218, v51
	v_cndmask_b32_e32 v51, 0x7f800000, v101, vcc_lo
	v_fma_f32 v52, v51, v52, v51
	v_cmp_class_f32_e64 vcc_lo, v51, 0x204
	v_cndmask_b32_e32 v51, v52, v51, vcc_lo
	v_trunc_f32_e32 v52, v53
	v_cmp_eq_f32_e32 vcc_lo, v52, v53
	v_mul_f32_e32 v52, 0.5, v53
	v_trunc_f32_e32 v101, v52
	v_cmp_neq_f32_e64 s16, v101, v52
	s_and_b32 vcc_lo, vcc_lo, s16
	v_cmp_class_f32_e64 s16, v53, 0x204
	v_cndmask_b32_e32 v52, 1.0, v54, vcc_lo
	v_cndmask_b32_e32 v101, 0, v54, vcc_lo
	v_cmp_o_f32_e32 vcc_lo, v54, v53
	v_cndmask_b32_e64 v53, v116, v118, s24
	v_bfi_b32 v51, 0x7fffffff, v51, v52
	v_cndmask_b32_e64 v52, 0x7f800000, 0, s17
	v_cmp_neq_f32_e64 s17, |v54|, 1.0
	v_cndmask_b32_e64 v52, 1.0, v52, s17
	v_cmp_class_f32_e64 s17, v54, 0x204
	v_cndmask_b32_e64 v51, v51, v52, s16
	v_cmp_eq_f32_e64 s16, 0, v54
	s_or_b32 s17, s16, s17
	s_xor_b32 s16, s18, s16
	v_cndmask_b32_e64 v52, 0x7f800000, 0, s16
	v_bfi_b32 v52, 0x7fffffff, v52, v101
	v_cndmask_b32_e64 v51, v51, v52, s17
	v_cndmask_b32_e32 v52, 0x7fc00000, v51, vcc_lo
	v_mul_f32_e32 v51, v47, v52
	v_mul_f32_e32 v52, v10, v52
	v_cndmask_b32_e64 v10, v115, v117, s24
	v_mul_f32_e32 v54, v10, v10
	v_fmaak_f32 v101, s27, v54, 0x3c0881c4
	v_fmaak_f32 v101, v54, v101, 0xbe2aaa9d
	v_mul_f32_e32 v101, v54, v101
	v_fmac_f32_e32 v10, v10, v101
	v_fmaak_f32 v101, s34, v54, 0xbab64f3b
	v_fmaak_f32 v101, v54, v101, 0x3d2aabf7
	;; [unrolled: 1-line block ×3, first 2 shown]
	v_fma_f32 v54, v54, v101, 1.0
	v_and_b32_e32 v101, 1, v53
	v_lshlrev_b32_e32 v53, 30, v53
	v_cmp_eq_u32_e32 vcc_lo, 0, v101
	v_and_b32_e32 v102, 0x80000000, v53
	v_cndmask_b32_e64 v101, -v10, v54, vcc_lo
	v_cndmask_b32_e32 v10, v54, v10, vcc_lo
	v_xor_b32_e32 v53, v102, v101
	v_xor_b32_e32 v10, v113, v10
	v_cndmask_b32_e64 v53, 0x7fc00000, v53, s25
	v_xor3_b32 v10, v10, v114, v102
	v_mul_f32_e32 v53, v106, v53
	v_cndmask_b32_e64 v10, 0x7fc00000, v10, s25
	v_mul_f32_e32 v54, v106, v10
	v_cndmask_b32_e64 v10, v97, v99, s15
	v_cndmask_b32_e64 v97, v98, v100, s15
	v_mul_f32_e32 v98, v10, v10
	v_and_b32_e32 v97, 1, v97
	v_fmaak_f32 v100, s36, v98, 0xbf039337
	v_fmaak_f32 v99, s35, v98, 0x3ec54587
	v_cmp_eq_u32_e32 vcc_lo, 0, v97
	v_fmaak_f32 v100, v98, v100, 0x3f93f425
	v_rcp_f32_e32 v100, v100
	v_mul_f32_e32 v99, v99, v100
	v_mul_f32_e32 v98, v98, v99
	v_fma_f32 v99, v98, v10, v10
	v_sub_f32_e32 v100, v99, v10
	v_fma_f32 v10, v98, v10, -v100
	v_rcp_f32_e32 v98, v99
	v_fma_f32 v100, v99, -v98, 1.0
	v_fma_f32 v10, v10, -v98, v100
	v_fma_f32 v10, v10, -v98, -v98
	v_cndmask_b32_e32 v10, v10, v99, vcc_lo
	v_xor3_b32 v10, v81, v10, v82
	v_cndmask_b32_e64 v97, 0x7fc00000, v10, s11
	v_and_b32_e32 v98, 0x7fffffff, v97
	v_cmp_gt_f32_e64 s11, 0x48000000, |v97|
	v_lshrrev_b32_e32 v10, 23, v98
	v_and_or_b32 v105, v98, s33, 0x800000
	v_add_nc_u32_e32 v10, 0xffffff88, v10
	v_cmp_lt_u32_e32 vcc_lo, 63, v10
	v_cndmask_b32_e64 v81, 0, 0xffffffc0, vcc_lo
	v_add_nc_u32_e32 v10, v81, v10
	v_cmp_lt_u32_e64 s15, 31, v10
	v_cndmask_b32_e64 v81, 0, 0xffffffe0, s15
	v_add_nc_u32_e32 v10, v81, v10
	v_cmp_lt_u32_e64 s16, 31, v10
	v_cndmask_b32_e64 v81, 0, 0xffffffe0, s16
	v_add_nc_u32_e32 v106, v81, v10
	v_mad_u64_u32 v[81:82], null, 0xfe5163ab, v105, 0
	v_cmp_eq_u32_e64 s17, 0, v106
	v_mov_b32_e32 v10, v82
	v_mad_u64_u32 v[99:100], null, 0x3c439041, v105, v[10:11]
	v_mov_b32_e32 v10, v100
	v_mad_u64_u32 v[100:101], null, 0xdb629599, v105, v[10:11]
	v_mov_b32_e32 v10, v101
	v_cndmask_b32_e32 v81, v100, v81, vcc_lo
	v_mad_u64_u32 v[101:102], null, 0xf534ddc0, v105, v[10:11]
	v_mov_b32_e32 v10, v102
	v_cndmask_b32_e32 v99, v101, v99, vcc_lo
	v_mad_u64_u32 v[102:103], null, 0xfc2757d1, v105, v[10:11]
	v_cndmask_b32_e64 v81, v99, v81, s15
	v_mov_b32_e32 v10, v103
	v_mad_u64_u32 v[103:104], null, 0x4e441529, v105, v[10:11]
	v_mov_b32_e32 v10, v104
	v_cndmask_b32_e32 v82, v103, v101, vcc_lo
	v_mad_u64_u32 v[104:105], null, 0xa2f9836e, v105, v[10:11]
	v_cndmask_b32_e32 v10, v104, v102, vcc_lo
	v_cndmask_b32_e32 v103, v105, v103, vcc_lo
	;; [unrolled: 1-line block ×3, first 2 shown]
	v_cndmask_b32_e64 v104, v10, v82, s15
	v_cndmask_b32_e64 v10, v103, v10, s15
	v_cndmask_b32_e64 v82, v82, v102, s15
	v_cndmask_b32_e64 v101, v102, v99, s15
	v_cmp_class_f32_e64 s15, v97, 0x1f8
	v_cndmask_b32_e64 v10, v10, v104, s16
	v_cndmask_b32_e64 v103, v104, v82, s16
	v_sub_nc_u32_e32 v104, 32, v106
	v_cndmask_b32_e64 v82, v82, v101, s16
	v_cndmask_b32_e64 v81, v101, v81, s16
	v_alignbit_b32 v105, v10, v103, v104
	v_alignbit_b32 v102, v103, v82, v104
	;; [unrolled: 1-line block ×3, first 2 shown]
	v_cndmask_b32_e64 v10, v105, v10, s17
	v_cndmask_b32_e64 v102, v102, v103, s17
	;; [unrolled: 1-line block ×3, first 2 shown]
	v_bfe_u32 v106, v10, 29, 1
	v_alignbit_b32 v103, v10, v102, 30
	v_alignbit_b32 v99, v102, v82, 30
	;; [unrolled: 1-line block ×3, first 2 shown]
	v_lshrrev_b32_e32 v105, 29, v10
	v_sub_nc_u32_e32 v107, 0, v106
	v_lshrrev_b32_e32 v10, 30, v10
	v_xor_b32_e32 v103, v103, v107
	v_xor_b32_e32 v99, v99, v107
	;; [unrolled: 1-line block ×3, first 2 shown]
	v_ffbh_u32_e32 v100, v103
	v_min_u32_e32 v100, 32, v100
	v_sub_nc_u32_e32 v101, 31, v100
	v_alignbit_b32 v102, v103, v99, v101
	v_alignbit_b32 v81, v99, v81, v101
	;; [unrolled: 1-line block ×3, first 2 shown]
	v_ffbh_u32_e32 v99, v82
	v_min_u32_e32 v99, 32, v99
	v_not_b32_e32 v101, v99
	v_add_lshl_u32 v99, v99, v100, 23
	v_lshlrev_b32_e32 v100, 23, v100
	v_alignbit_b32 v81, v82, v81, v101
	v_lshlrev_b32_e32 v82, 31, v105
	v_lshrrev_b32_e32 v81, 9, v81
	v_or_b32_e32 v101, 0x33000000, v82
	v_or_b32_e32 v82, 0.5, v82
	v_sub_nc_u32_e32 v99, v101, v99
	v_sub_nc_u32_e32 v82, v82, v100
	v_or_b32_e32 v81, v99, v81
	v_lshrrev_b32_e32 v99, 9, v102
	v_or_b32_e32 v82, v99, v82
	v_mul_f32_e32 v99, 0x3fc90fda, v82
	v_fma_f32 v100, 0x3fc90fda, v82, -v99
	v_fmac_f32_e32 v100, 0x33a22168, v82
	v_fmac_f32_e32 v100, 0x3fc90fda, v81
	v_cndmask_b32_e64 v81, v90, v94, s8
	v_add_f32_e32 v99, v99, v100
	v_add_nc_u32_e32 v100, v106, v10
	v_mul_f32_e64 v10, 0x3f22f983, |v97|
	v_and_b32_e32 v81, 1, v81
	v_rndne_f32_e32 v10, v10
	v_cmp_eq_u32_e32 vcc_lo, 0, v81
	v_fma_f32 v101, 0xbfc90fda, v10, |v97|
	v_cvt_i32_f32_e32 v102, v10
	v_fmac_f32_e32 v101, 0xb3a22168, v10
	v_fmac_f32_e32 v101, 0xa7c234c4, v10
	v_cndmask_b32_e64 v10, v89, v92, s8
	v_mul_f32_e32 v82, v10, v10
	v_fmaak_f32 v90, s36, v82, 0xbf039337
	v_fmaak_f32 v89, s35, v82, 0x3ec54587
	;; [unrolled: 1-line block ×3, first 2 shown]
	v_rcp_f32_e32 v90, v90
	v_mul_f32_e32 v89, v89, v90
	v_mul_f32_e32 v82, v82, v89
	v_fma_f32 v89, v82, v10, v10
	v_sub_f32_e32 v90, v89, v10
	v_fma_f32 v10, v82, v10, -v90
	v_rcp_f32_e32 v82, v89
	v_fma_f32 v90, v89, -v82, 1.0
	v_fma_f32 v10, v10, -v82, v90
	v_fma_f32 v10, v10, -v82, -v82
	v_cndmask_b32_e32 v10, v10, v89, vcc_lo
	v_xor3_b32 v10, v55, v10, v56
	v_cndmask_b32_e64 v92, 0x7fc00000, v10, s13
	v_and_b32_e32 v94, 0x7fffffff, v92
	v_cmp_gt_f32_e64 s8, 0x48000000, |v92|
	v_lshrrev_b32_e32 v10, 23, v94
	v_and_or_b32 v107, v94, s33, 0x800000
	v_add_nc_u32_e32 v10, 0xffffff88, v10
	v_cmp_lt_u32_e32 vcc_lo, 63, v10
	v_cndmask_b32_e64 v55, 0, 0xffffffc0, vcc_lo
	v_add_nc_u32_e32 v10, v55, v10
	v_cmp_lt_u32_e64 s13, 31, v10
	v_cndmask_b32_e64 v55, 0, 0xffffffe0, s13
	v_add_nc_u32_e32 v10, v55, v10
	v_cmp_lt_u32_e64 s16, 31, v10
	v_cndmask_b32_e64 v55, 0, 0xffffffe0, s16
	v_add_nc_u32_e32 v108, v55, v10
	v_mad_u64_u32 v[55:56], null, 0xfe5163ab, v107, 0
	v_cmp_eq_u32_e64 s17, 0, v108
	v_mov_b32_e32 v10, v56
	v_mad_u64_u32 v[81:82], null, 0x3c439041, v107, v[10:11]
	v_mov_b32_e32 v10, v82
	v_mad_u64_u32 v[89:90], null, 0xdb629599, v107, v[10:11]
	v_mov_b32_e32 v10, v90
	v_cndmask_b32_e32 v55, v89, v55, vcc_lo
	v_mad_u64_u32 v[103:104], null, 0xf534ddc0, v107, v[10:11]
	v_mov_b32_e32 v10, v104
	v_cndmask_b32_e32 v81, v103, v81, vcc_lo
	v_mad_u64_u32 v[104:105], null, 0xfc2757d1, v107, v[10:11]
	v_cndmask_b32_e64 v55, v81, v55, s13
	v_mov_b32_e32 v10, v105
	v_mad_u64_u32 v[105:106], null, 0x4e441529, v107, v[10:11]
	v_mov_b32_e32 v10, v106
	v_cndmask_b32_e32 v56, v105, v103, vcc_lo
	v_mad_u64_u32 v[106:107], null, 0xa2f9836e, v107, v[10:11]
	v_cndmask_b32_e32 v10, v106, v104, vcc_lo
	v_cndmask_b32_e32 v90, v107, v105, vcc_lo
	v_cndmask_b32_e64 v82, v10, v56, s13
	v_cndmask_b32_e64 v10, v90, v10, s13
	v_cndmask_b32_e32 v90, v104, v89, vcc_lo
	v_sub_nc_u32_e32 v104, 32, v108
	v_cndmask_b32_e64 v10, v10, v82, s16
	v_cndmask_b32_e64 v56, v56, v90, s13
	;; [unrolled: 1-line block ×3, first 2 shown]
	v_cmp_class_f32_e64 s13, v92, 0x1f8
	v_cndmask_b32_e64 v82, v82, v56, s16
	v_cndmask_b32_e64 v56, v56, v90, s16
	;; [unrolled: 1-line block ×3, first 2 shown]
	v_alignbit_b32 v105, v10, v82, v104
	v_alignbit_b32 v103, v82, v56, v104
	;; [unrolled: 1-line block ×3, first 2 shown]
	v_cndmask_b32_e64 v10, v105, v10, s17
	v_cndmask_b32_e64 v82, v103, v82, s17
	v_cndmask_b32_e64 v56, v81, v56, s17
	v_bfe_u32 v106, v10, 29, 1
	v_alignbit_b32 v103, v10, v82, 30
	v_alignbit_b32 v81, v82, v56, 30
	;; [unrolled: 1-line block ×3, first 2 shown]
	v_lshrrev_b32_e32 v105, 29, v10
	v_sub_nc_u32_e32 v107, 0, v106
	v_lshrrev_b32_e32 v10, 30, v10
	v_xor_b32_e32 v103, v103, v107
	v_xor_b32_e32 v81, v81, v107
	;; [unrolled: 1-line block ×3, first 2 shown]
	v_add_nc_u32_e32 v104, v106, v10
	v_mul_f32_e64 v10, 0x3f22f983, |v92|
	v_ffbh_u32_e32 v82, v103
	v_rndne_f32_e32 v10, v10
	v_min_u32_e32 v82, 32, v82
	v_cvt_i32_f32_e32 v106, v10
	v_sub_nc_u32_e32 v89, 31, v82
	v_alignbit_b32 v90, v103, v81, v89
	v_alignbit_b32 v55, v81, v55, v89
	;; [unrolled: 1-line block ×3, first 2 shown]
	v_ffbh_u32_e32 v81, v56
	v_min_u32_e32 v81, 32, v81
	v_not_b32_e32 v89, v81
	v_add_lshl_u32 v81, v81, v82, 23
	v_lshlrev_b32_e32 v82, 23, v82
	v_alignbit_b32 v55, v56, v55, v89
	v_lshlrev_b32_e32 v56, 31, v105
	v_fma_f32 v105, 0xbfc90fda, v10, |v92|
	v_lshrrev_b32_e32 v55, 9, v55
	v_or_b32_e32 v89, 0x33000000, v56
	v_or_b32_e32 v56, 0.5, v56
	v_fmac_f32_e32 v105, 0xb3a22168, v10
	v_sub_nc_u32_e32 v81, v89, v81
	v_sub_nc_u32_e32 v56, v56, v82
	v_fmac_f32_e32 v105, 0xa7c234c4, v10
	v_cndmask_b32_e64 v10, v91, v95, s12
	v_or_b32_e32 v55, v81, v55
	v_lshrrev_b32_e32 v81, 9, v90
	v_or_b32_e32 v56, v81, v56
	v_mul_f32_e32 v81, 0x3fc90fda, v56
	v_fma_f32 v82, 0x3fc90fda, v56, -v81
	v_fmac_f32_e32 v82, 0x33a22168, v56
	v_mul_f32_e32 v56, v10, v10
	v_fmac_f32_e32 v82, 0x3fc90fda, v55
	v_cndmask_b32_e64 v55, v93, v96, s12
	v_add_f32_e32 v103, v81, v82
	v_fmaak_f32 v81, s27, v56, 0x3c0881c4
	v_fmaak_f32 v81, v56, v81, 0xbe2aaa9d
	v_mul_f32_e32 v81, v56, v81
	v_fmac_f32_e32 v10, v10, v81
	v_fmaak_f32 v81, s34, v56, 0xbab64f3b
	v_fmaak_f32 v81, v56, v81, 0x3d2aabf7
	;; [unrolled: 1-line block ×3, first 2 shown]
	v_fma_f32 v56, v56, v81, 1.0
	v_and_b32_e32 v81, 1, v55
	v_lshlrev_b32_e32 v55, 30, v55
	v_cmp_eq_u32_e32 vcc_lo, 0, v81
	v_and_b32_e32 v55, 0x80000000, v55
	v_cndmask_b32_e32 v10, v56, v10, vcc_lo
	v_xor_b32_e32 v55, v55, v83
	v_xor3_b32 v10, v55, v10, v84
	v_cndmask_b32_e64 v10, 0x7fc00000, v10, s14
	v_cmp_eq_f32_e32 vcc_lo, 1.0, v10
	v_frexp_mant_f32_e64 v55, |v10|
	v_cmp_gt_f32_e64 s14, 0, v10
	v_cndmask_b32_e64 v81, 0x40400000, 1.0, vcc_lo
	v_cmp_gt_f32_e32 vcc_lo, 0x3f2aaaab, v55
	v_cndmask_b32_e64 v56, 1.0, 2.0, vcc_lo
	v_mul_f32_e32 v55, v55, v56
	v_add_f32_e32 v82, 1.0, v55
	v_add_f32_e32 v56, -1.0, v55
	v_add_f32_e32 v83, -1.0, v82
	v_sub_f32_e32 v55, v55, v83
	v_rcp_f32_e32 v83, v82
	v_mul_f32_e32 v84, v56, v83
	v_mul_f32_e32 v89, v82, v84
	v_fma_f32 v82, v84, v82, -v89
	v_fmac_f32_e32 v82, v84, v55
	v_add_f32_e32 v55, v89, v82
	v_sub_f32_e32 v90, v56, v55
	v_sub_f32_e32 v89, v55, v89
	;; [unrolled: 1-line block ×5, first 2 shown]
	v_add_f32_e32 v55, v56, v55
	v_add_f32_e32 v55, v90, v55
	v_mul_f32_e32 v55, v83, v55
	v_add_f32_e32 v82, v84, v55
	v_sub_f32_e32 v56, v82, v84
	v_sub_f32_e32 v83, v55, v56
	v_mul_f32_e32 v55, v82, v82
	v_add_f32_e32 v84, v83, v83
	v_fma_f32 v56, v82, v82, -v55
	v_fmac_f32_e32 v56, v82, v84
	v_add_f32_e32 v84, v55, v56
	v_sub_f32_e32 v55, v84, v55
	v_fmaak_f32 v89, s19, v84, 0x3e91f4c4
	v_sub_f32_e32 v55, v56, v55
	v_mul_f32_e32 v56, v82, v84
	v_fmaak_f32 v89, v84, v89, 0x3ecccdef
	v_fma_f32 v90, v84, v82, -v56
	v_fmac_f32_e32 v90, v84, v83
	v_fmac_f32_e32 v90, v55, v82
	v_ldexp_f32 v82, v82, 1
	v_add_f32_e32 v91, v56, v90
	v_sub_f32_e32 v56, v91, v56
	v_sub_f32_e32 v56, v90, v56
	v_mul_f32_e32 v90, v84, v89
	v_fma_f32 v84, v84, v89, -v90
	v_fmac_f32_e32 v84, v55, v89
	v_add_f32_e32 v55, v90, v84
	v_add_f32_e32 v89, 0x3f2aaaaa, v55
	v_sub_f32_e32 v90, v55, v90
	v_sub_f32_e32 v84, v84, v90
	v_add_f32_e32 v90, 0xbf2aaaaa, v89
	v_add_f32_e32 v84, 0x31739010, v84
	v_sub_f32_e32 v55, v55, v90
	v_add_f32_e32 v55, v84, v55
	v_add_f32_e32 v84, v89, v55
	v_sub_f32_e32 v89, v89, v84
	v_add_f32_e32 v55, v55, v89
	v_mul_f32_e32 v89, v91, v84
	v_fma_f32 v90, v91, v84, -v89
	v_fmac_f32_e32 v90, v91, v55
	v_fmac_f32_e32 v90, v56, v84
	v_cvt_f64_f32_e64 v[55:56], |v10|
	v_frexp_exp_i32_f64_e32 v55, v[55:56]
	v_subrev_co_ci_u32_e64 v55, null, 0, v55, vcc_lo
	v_cvt_f32_i32_e32 v55, v55
	v_mul_f32_e32 v56, 0x3f317218, v55
	v_fma_f32 v84, 0x3f317218, v55, -v56
	v_fmac_f32_e32 v84, 0xb102e308, v55
	v_ldexp_f32 v55, v83, 1
	v_add_f32_e32 v83, v56, v84
	v_sub_f32_e32 v56, v83, v56
	v_sub_f32_e32 v56, v84, v56
	v_add_f32_e32 v84, v89, v90
	v_sub_f32_e32 v89, v84, v89
	v_sub_f32_e32 v89, v90, v89
	v_add_f32_e32 v90, v82, v84
	v_add_f32_e32 v55, v55, v89
	v_sub_f32_e32 v82, v90, v82
	v_sub_f32_e32 v82, v84, v82
	v_add_f32_e32 v55, v55, v82
	;; [unrolled: 4-line block ×3, first 2 shown]
	v_sub_f32_e32 v89, v84, v83
	v_sub_f32_e32 v90, v84, v89
	v_sub_f32_e32 v82, v82, v89
	v_sub_f32_e32 v83, v83, v90
	v_add_f32_e32 v82, v82, v83
	v_add_f32_e32 v83, v56, v55
	v_sub_f32_e32 v89, v83, v56
	v_sub_f32_e32 v90, v83, v89
	v_sub_f32_e32 v55, v55, v89
	v_sub_f32_e32 v56, v56, v90
	v_add_f32_e32 v55, v55, v56
	v_add_f32_e32 v56, v83, v82
	;; [unrolled: 1-line block ×3, first 2 shown]
	v_sub_f32_e32 v83, v82, v84
	v_sub_f32_e32 v56, v56, v83
	v_add_f32_e32 v55, v55, v56
	v_add_f32_e32 v56, v82, v55
	v_sub_f32_e32 v82, v56, v82
	v_sub_f32_e32 v55, v55, v82
	v_mul_f32_e32 v82, v81, v56
	v_fma_f32 v56, v81, v56, -v82
	v_cmp_class_f32_e64 vcc_lo, v82, 0x204
	v_fmac_f32_e32 v56, v81, v55
	v_add_f32_e32 v55, v82, v56
	v_sub_f32_e32 v83, v55, v82
	v_cndmask_b32_e32 v55, v55, v82, vcc_lo
	v_sub_f32_e32 v56, v56, v83
	v_cmp_neq_f32_e64 vcc_lo, 0x7f800000, |v55|
	v_cndmask_b32_e32 v56, 0, v56, vcc_lo
	v_cmp_eq_f32_e32 vcc_lo, 0x42b17218, v55
	v_cndmask_b32_e64 v82, 0, 0x37000000, vcc_lo
	v_sub_f32_e32 v55, v55, v82
	v_add_f32_e32 v56, v82, v56
	v_mul_f32_e32 v82, 0x3fb8aa3b, v55
	v_cmp_ngt_f32_e32 vcc_lo, 0xc2ce8ed0, v55
	v_fma_f32 v83, 0x3fb8aa3b, v55, -v82
	v_rndne_f32_e32 v84, v82
	v_fmac_f32_e32 v83, 0x32a5705f, v55
	v_sub_f32_e32 v82, v82, v84
	v_add_f32_e32 v82, v82, v83
	v_cvt_i32_f32_e32 v83, v84
	v_exp_f32_e32 v82, v82
	v_ldexp_f32 v82, v82, v83
	v_cndmask_b32_e32 v82, 0, v82, vcc_lo
	v_cmp_nlt_f32_e32 vcc_lo, 0x42b17218, v55
	v_cndmask_b32_e32 v55, 0x7f800000, v82, vcc_lo
	v_fma_f32 v56, v55, v56, v55
	v_cmp_class_f32_e64 vcc_lo, v55, 0x204
	v_cndmask_b32_e32 v55, v56, v55, vcc_lo
	v_trunc_f32_e32 v56, v81
	v_cmp_eq_f32_e32 vcc_lo, v56, v81
	v_mul_f32_e32 v56, 0.5, v81
	v_trunc_f32_e32 v81, v56
	v_cmp_neq_f32_e64 s12, v81, v56
	s_and_b32 s12, vcc_lo, s12
	v_cndmask_b32_e64 v56, 1.0, v10, s12
	v_cndmask_b32_e64 v81, 0, v10, s12
	v_bfi_b32 v55, 0x7fffffff, v55, v56
	v_cndmask_b32_e32 v56, 0x7fc00000, v55, vcc_lo
	v_cmp_eq_f32_e32 vcc_lo, 0, v10
	v_cndmask_b32_e64 v55, v55, v56, s14
	v_cndmask_b32_e64 v56, 0x7f800000, 0, vcc_lo
	v_cmp_class_f32_e64 s14, v10, 0x204
	v_bfi_b32 v56, 0x7fffffff, v56, v81
	v_cndmask_b32_e64 v81, v85, v87, s10
	s_or_b32 s14, vcc_lo, s14
	v_cmp_o_f32_e32 vcc_lo, v10, v10
	v_cndmask_b32_e64 v55, v55, v56, s14
	v_mul_f32_e32 v56, v81, v81
	v_cndmask_b32_e32 v84, 0x7fc00000, v55, vcc_lo
	v_fmaak_f32 v82, s27, v56, 0x3c0881c4
	v_cndmask_b32_e64 v55, v86, v88, s10
	v_fmaak_f32 v82, v56, v82, 0xbe2aaa9d
	v_mul_f32_e32 v82, v56, v82
	v_fmac_f32_e32 v81, v81, v82
	v_fmaak_f32 v82, s34, v56, 0xbab64f3b
	v_fmaak_f32 v82, v56, v82, 0x3d2aabf7
	;; [unrolled: 1-line block ×3, first 2 shown]
	v_fma_f32 v82, v56, v82, 1.0
	v_and_b32_e32 v56, 1, v55
	v_lshlrev_b32_e32 v55, 30, v55
	v_cmp_eq_u32_e64 s10, 0, v56
	v_and_b32_e32 v83, 0x80000000, v55
	v_cndmask_b32_e64 v56, v82, v81, s10
	v_xor_b32_e32 v55, v57, v56
	v_xor3_b32 v55, v55, v59, v83
	v_cndmask_b32_e64 v57, 0x7fc00000, v55, s0
	v_cmp_eq_f32_e32 vcc_lo, 1.0, v57
	v_frexp_mant_f32_e64 v55, |v57|
	v_cmp_gt_f32_e64 s14, 0, v57
	v_cndmask_b32_e64 v59, 0x40400000, 1.0, vcc_lo
	v_cmp_gt_f32_e32 vcc_lo, 0x3f2aaaab, v55
	v_cndmask_b32_e64 v56, 1.0, 2.0, vcc_lo
	v_mul_f32_e32 v55, v55, v56
	v_add_f32_e32 v85, 1.0, v55
	v_add_f32_e32 v56, -1.0, v55
	v_add_f32_e32 v86, -1.0, v85
	v_sub_f32_e32 v55, v55, v86
	v_rcp_f32_e32 v86, v85
	v_mul_f32_e32 v87, v56, v86
	v_mul_f32_e32 v88, v85, v87
	v_fma_f32 v85, v87, v85, -v88
	v_fmac_f32_e32 v85, v87, v55
	v_add_f32_e32 v55, v88, v85
	v_sub_f32_e32 v89, v56, v55
	v_sub_f32_e32 v88, v55, v88
	;; [unrolled: 1-line block ×5, first 2 shown]
	v_add_f32_e32 v55, v56, v55
	v_add_f32_e32 v55, v89, v55
	v_mul_f32_e32 v55, v86, v55
	v_add_f32_e32 v85, v87, v55
	v_sub_f32_e32 v56, v85, v87
	v_sub_f32_e32 v86, v55, v56
	v_mul_f32_e32 v55, v85, v85
	v_add_f32_e32 v87, v86, v86
	v_fma_f32 v56, v85, v85, -v55
	v_fmac_f32_e32 v56, v85, v87
	v_add_f32_e32 v87, v55, v56
	v_sub_f32_e32 v55, v87, v55
	v_fmaak_f32 v88, s19, v87, 0x3e91f4c4
	v_sub_f32_e32 v55, v56, v55
	v_mul_f32_e32 v56, v85, v87
	v_fmaak_f32 v88, v87, v88, 0x3ecccdef
	v_fma_f32 v89, v87, v85, -v56
	v_fmac_f32_e32 v89, v87, v86
	v_fmac_f32_e32 v89, v55, v85
	v_ldexp_f32 v85, v85, 1
	v_add_f32_e32 v90, v56, v89
	v_sub_f32_e32 v56, v90, v56
	v_sub_f32_e32 v56, v89, v56
	v_mul_f32_e32 v89, v87, v88
	v_fma_f32 v87, v87, v88, -v89
	v_fmac_f32_e32 v87, v55, v88
	v_add_f32_e32 v55, v89, v87
	v_add_f32_e32 v88, 0x3f2aaaaa, v55
	v_sub_f32_e32 v89, v55, v89
	v_sub_f32_e32 v87, v87, v89
	v_add_f32_e32 v89, 0xbf2aaaaa, v88
	v_add_f32_e32 v87, 0x31739010, v87
	v_sub_f32_e32 v55, v55, v89
	v_add_f32_e32 v55, v87, v55
	v_add_f32_e32 v87, v88, v55
	v_sub_f32_e32 v88, v88, v87
	v_add_f32_e32 v55, v55, v88
	v_mul_f32_e32 v88, v90, v87
	v_fma_f32 v89, v90, v87, -v88
	v_fmac_f32_e32 v89, v90, v55
	v_fmac_f32_e32 v89, v56, v87
	v_cvt_f64_f32_e64 v[55:56], |v57|
	v_frexp_exp_i32_f64_e32 v55, v[55:56]
	v_subrev_co_ci_u32_e64 v55, null, 0, v55, vcc_lo
	v_cvt_f32_i32_e32 v55, v55
	v_mul_f32_e32 v56, 0x3f317218, v55
	v_fma_f32 v87, 0x3f317218, v55, -v56
	v_fmac_f32_e32 v87, 0xb102e308, v55
	v_ldexp_f32 v55, v86, 1
	v_add_f32_e32 v86, v56, v87
	v_sub_f32_e32 v56, v86, v56
	v_sub_f32_e32 v56, v87, v56
	v_add_f32_e32 v87, v88, v89
	v_sub_f32_e32 v88, v87, v88
	v_sub_f32_e32 v88, v89, v88
	v_add_f32_e32 v89, v85, v87
	v_add_f32_e32 v55, v55, v88
	v_sub_f32_e32 v85, v89, v85
	v_sub_f32_e32 v85, v87, v85
	v_add_f32_e32 v55, v55, v85
	;; [unrolled: 4-line block ×3, first 2 shown]
	v_sub_f32_e32 v88, v87, v86
	v_sub_f32_e32 v89, v87, v88
	;; [unrolled: 1-line block ×4, first 2 shown]
	v_add_f32_e32 v85, v85, v86
	v_add_f32_e32 v86, v56, v55
	v_sub_f32_e32 v88, v86, v56
	v_sub_f32_e32 v89, v86, v88
	;; [unrolled: 1-line block ×4, first 2 shown]
	v_add_f32_e32 v55, v55, v56
	v_add_f32_e32 v56, v86, v85
	;; [unrolled: 1-line block ×3, first 2 shown]
	v_sub_f32_e32 v86, v85, v87
	v_sub_f32_e32 v56, v56, v86
	v_add_f32_e32 v55, v55, v56
	v_add_f32_e32 v56, v85, v55
	v_sub_f32_e32 v85, v56, v85
	v_sub_f32_e32 v55, v55, v85
	v_mul_f32_e32 v85, v59, v56
	v_fma_f32 v56, v59, v56, -v85
	v_cmp_class_f32_e64 vcc_lo, v85, 0x204
	v_fmac_f32_e32 v56, v59, v55
	v_add_f32_e32 v55, v85, v56
	v_sub_f32_e32 v86, v55, v85
	v_cndmask_b32_e32 v55, v55, v85, vcc_lo
	v_sub_f32_e32 v56, v56, v86
	v_cmp_neq_f32_e64 vcc_lo, 0x7f800000, |v55|
	v_cndmask_b32_e32 v56, 0, v56, vcc_lo
	v_cmp_eq_f32_e32 vcc_lo, 0x42b17218, v55
	v_cndmask_b32_e64 v85, 0, 0x37000000, vcc_lo
	v_sub_f32_e32 v55, v55, v85
	v_add_f32_e32 v56, v85, v56
	v_mul_f32_e32 v85, 0x3fb8aa3b, v55
	v_cmp_ngt_f32_e32 vcc_lo, 0xc2ce8ed0, v55
	v_fma_f32 v86, 0x3fb8aa3b, v55, -v85
	v_rndne_f32_e32 v87, v85
	v_fmac_f32_e32 v86, 0x32a5705f, v55
	v_sub_f32_e32 v85, v85, v87
	v_add_f32_e32 v85, v85, v86
	v_cvt_i32_f32_e32 v86, v87
	v_exp_f32_e32 v85, v85
	v_ldexp_f32 v85, v85, v86
	v_cndmask_b32_e32 v85, 0, v85, vcc_lo
	v_cmp_nlt_f32_e32 vcc_lo, 0x42b17218, v55
	v_cndmask_b32_e32 v55, 0x7f800000, v85, vcc_lo
	v_fma_f32 v56, v55, v56, v55
	v_cmp_class_f32_e64 vcc_lo, v55, 0x204
	v_cndmask_b32_e32 v55, v56, v55, vcc_lo
	v_trunc_f32_e32 v56, v59
	v_cmp_eq_f32_e32 vcc_lo, v56, v59
	v_mul_f32_e32 v56, 0.5, v59
	v_trunc_f32_e32 v59, v56
	v_cmp_neq_f32_e64 s12, v59, v56
	s_and_b32 s12, vcc_lo, s12
	v_cndmask_b32_e64 v56, 1.0, v57, s12
	v_cndmask_b32_e64 v59, 0, v57, s12
	v_bfi_b32 v55, 0x7fffffff, v55, v56
	v_cndmask_b32_e32 v56, 0x7fc00000, v55, vcc_lo
	v_cmp_eq_f32_e32 vcc_lo, 0, v57
	v_cndmask_b32_e64 v55, v55, v56, s14
	v_cndmask_b32_e64 v56, 0x7f800000, 0, vcc_lo
	v_cmp_class_f32_e64 s14, v57, 0x204
	v_bfi_b32 v56, 0x7fffffff, v56, v59
	v_cndmask_b32_e64 v59, v60, v62, s7
	s_or_b32 s14, vcc_lo, s14
	v_cmp_o_f32_e32 vcc_lo, v57, v57
	v_cndmask_b32_e64 v57, v61, v80, s7
	v_cndmask_b32_e64 v55, v55, v56, s14
	v_mul_f32_e32 v60, v59, v59
	v_cndmask_b32_e32 v56, 0x7fc00000, v55, vcc_lo
	v_fmaak_f32 v61, s27, v60, 0x3c0881c4
	v_add_f32_e32 v55, v84, v56
	v_fmaak_f32 v61, v60, v61, 0xbe2aaa9d
	v_sub_f32_e32 v56, v84, v56
	v_mul_f32_e32 v55, v20, v55
	v_mul_f32_e32 v61, v60, v61
	v_mul_f32_e32 v56, v20, v56
	v_fmac_f32_e32 v59, v59, v61
	v_fmaak_f32 v61, s34, v60, 0xbab64f3b
	v_fmaak_f32 v61, v60, v61, 0x3d2aabf7
	;; [unrolled: 1-line block ×3, first 2 shown]
	v_fma_f32 v60, v60, v61, 1.0
	v_and_b32_e32 v61, 1, v57
	v_lshlrev_b32_e32 v57, 30, v57
	v_cmp_eq_u32_e32 vcc_lo, 0, v61
	v_and_b32_e32 v80, 0x80000000, v57
	v_cndmask_b32_e64 v61, -v59, v60, vcc_lo
	v_cndmask_b32_e32 v59, v60, v59, vcc_lo
	v_xor_b32_e32 v57, v80, v61
	v_xor_b32_e32 v59, v20, v59
	v_cndmask_b32_e64 v62, 0x7fc00000, v57, s9
	v_xor3_b32 v58, v59, v58, v80
	v_div_scale_f32 v59, null, v20, v20, v48
	v_mul_f32_e32 v57, v62, v48
	v_cndmask_b32_e64 v61, 0x7fc00000, v58, s9
	v_rcp_f32_e32 v60, v59
	v_sub_f32_e32 v62, v48, v62
	v_mul_f32_e32 v58, v61, v47
	v_add_f32_e32 v61, v61, v47
	v_mul_f32_e32 v62, v20, v62
	v_fma_f32 v80, -v59, v60, 1.0
	v_mul_f32_e32 v61, v20, v61
	v_fmac_f32_e32 v60, v80, v60
	v_div_scale_f32 v80, vcc_lo, v48, v20, v48
	v_mul_f32_e32 v84, v80, v60
	v_fma_f32 v85, -v59, v84, v80
	v_fmac_f32_e32 v84, v85, v60
	v_fma_f32 v59, -v59, v84, v80
	v_div_fmas_f32 v59, v59, v60, v84
	v_cmp_eq_u32_e32 vcc_lo, 0, v70
	v_mul_f32_e32 v60, v20, v47
	v_div_fixup_f32 v59, v59, v20, v48
	v_cndmask_b32_e32 v70, v69, v67, vcc_lo
	v_xor_b32_e32 v63, v63, v70
	v_xor3_b32 v63, v63, v64, v68
	v_cndmask_b32_e64 v64, -v67, v69, vcc_lo
	v_cndmask_b32_e64 v67, v72, v74, s3
	v_cndmask_b32_e64 v63, 0x7fc00000, v63, s2
	v_xor_b32_e32 v64, v68, v64
	v_mul_f32_e32 v69, v67, v67
	v_cndmask_b32_e64 v68, v73, v75, s3
	v_mul_f32_e32 v63, v36, v63
	v_cndmask_b32_e64 v64, 0x7fc00000, v64, s2
	v_fmaak_f32 v70, s27, v69, 0x3c0881c4
	v_mul_f32_e32 v64, v36, v64
	v_fmaak_f32 v70, v69, v70, 0xbe2aaa9d
	v_mul_f32_e32 v70, v69, v70
	v_fmac_f32_e32 v67, v67, v70
	v_fmaak_f32 v70, s34, v69, 0xbab64f3b
	v_fmaak_f32 v70, v69, v70, 0x3d2aabf7
	;; [unrolled: 1-line block ×3, first 2 shown]
	v_fma_f32 v69, v69, v70, 1.0
	v_and_b32_e32 v70, 1, v68
	v_lshlrev_b32_e32 v68, 30, v68
	v_cmp_eq_u32_e32 vcc_lo, 0, v70
	v_and_b32_e32 v68, 0x80000000, v68
	v_cndmask_b32_e32 v70, v69, v67, vcc_lo
	v_xor_b32_e32 v65, v65, v70
	v_xor3_b32 v65, v65, v66, v68
	v_cndmask_b32_e64 v66, -v67, v69, vcc_lo
	v_mul_f32_e32 v67, v20, v10
	v_cndmask_b32_e64 v10, -v81, v82, s10
	v_cndmask_b32_e64 v69, v77, v79, s5
	v_cndmask_b32_e64 v65, 0x7fc00000, v65, s4
	v_xor_b32_e32 v66, v68, v66
	v_xor_b32_e32 v10, v83, v10
	v_mul_f32_e32 v65, v20, v65
	v_cndmask_b32_e64 v66, 0x7fc00000, v66, s4
	v_cndmask_b32_e64 v10, 0x7fc00000, v10, s0
	v_mul_f32_e64 v66, v66, -v20
	v_mul_f32_e32 v68, v20, v10
	v_cndmask_b32_e64 v10, v76, v78, s5
	v_mul_f32_e32 v70, v10, v10
	v_fmaak_f32 v72, s27, v70, 0x3c0881c4
	v_fmaak_f32 v72, v70, v72, 0xbe2aaa9d
	v_mul_f32_e32 v72, v70, v72
	v_fmac_f32_e32 v10, v10, v72
	v_fmaak_f32 v72, s34, v70, 0xbab64f3b
	v_fmaak_f32 v72, v70, v72, 0x3d2aabf7
	;; [unrolled: 1-line block ×3, first 2 shown]
	v_fma_f32 v70, v70, v72, 1.0
	v_and_b32_e32 v72, 1, v69
	v_lshlrev_b32_e32 v69, 30, v69
	v_cmp_eq_u32_e32 vcc_lo, 0, v72
	v_and_b32_e32 v69, 0x80000000, v69
	v_cndmask_b32_e32 v72, v70, v10, vcc_lo
	v_or_b32_e32 v71, v69, v71
	v_cndmask_b32_e64 v10, -v10, v70, vcc_lo
	v_xor3_b32 v0, v71, v0, v72
	v_xor_b32_e32 v10, v69, v10
	v_cndmask_b32_e64 v0, 0x7fc00000, v0, s6
	v_cndmask_b32_e64 v10, 0x7fc00000, v10, s6
	v_mul_f32_e32 v70, v3, v0
	v_mul_f32_e32 v69, v3, v10
	v_fmac_f32_e32 v70, v19, v10
	v_add_f32_e32 v10, v17, v21
	v_fma_f32 v69, v19, v0, -v69
	v_mul_f32_e32 v0, 0x40490fdb, v2
	v_cvt_f64_f32_e64 v[72:73], |v10|
	v_bfi_b32 v71, 0x7fffffff, 0, v10
	v_mul_f32_e32 v0, v2, v0
	v_and_b32_e32 v77, 0x80000000, v10
	v_cmp_class_f32_e64 s2, v10, 0x1f8
	v_fma_f32 v79, 0.5, v0, v21
	v_cmp_eq_f32_e64 vcc_lo, |v10|, |v0|
	v_cmp_gt_f32_e64 s16, |v10|, |v0|
	v_fmac_f32_e32 v21, -0.5, v0
	v_cmp_eq_f32_e64 s1, 0, v0
	v_and_b32_e32 v80, 0x7fffffff, v79
	v_cndmask_b32_e32 v71, v10, v71, vcc_lo
	v_cmp_o_f32_e32 vcc_lo, v0, v0
	v_mul_f32_e32 v78, 0.5, v0
	v_cmp_gt_f32_e64 s9, 0x48000000, |v79|
	v_and_or_b32 v88, v80, s33, 0x800000
	v_cmp_gt_f32_e64 s10, 0x48000000, |v21|
	s_and_b32 s2, vcc_lo, s2
	v_frexp_exp_i32_f64_e32 v75, v[72:73]
	v_frexp_mant_f32_e64 v72, |v10|
	v_lshrrev_b32_e32 v10, 23, v80
	v_cvt_f64_f32_e64 v[73:74], |v0|
	v_ldexp_f32 v72, v72, 12
	v_add_nc_u32_e32 v10, 0xffffff88, v10
	v_cmp_lt_u32_e32 vcc_lo, 63, v10
	v_cndmask_b32_e64 v81, 0, 0xffffffc0, vcc_lo
	v_add_nc_u32_e32 v10, v81, v10
	v_frexp_exp_i32_f64_e32 v76, v[73:74]
	v_frexp_mant_f32_e64 v74, |v0|
	v_cmp_lt_u32_e64 s3, 31, v10
	v_ldexp_f32 v74, v74, 1
	v_cndmask_b32_e64 v81, 0, 0xffffffe0, s3
	v_add_nc_u32_e32 v10, v81, v10
	v_cmp_lt_u32_e64 s4, 31, v10
	v_cndmask_b32_e64 v81, 0, 0xffffffe0, s4
	v_add_nc_u32_e32 v73, -1, v76
	v_sub_nc_u32_e32 v75, v75, v76
	v_rcp_f32_e32 v76, v74
	v_add_nc_u32_e32 v89, v81, v10
	v_mad_u64_u32 v[81:82], null, 0xfe5163ab, v88, 0
	v_cmp_lt_i32_e64 s0, 12, v75
	v_cmp_eq_u32_e64 s5, 0, v89
	v_mov_b32_e32 v10, v82
	v_mad_u64_u32 v[82:83], null, 0x3c439041, v88, v[10:11]
	v_mov_b32_e32 v10, v83
	v_mad_u64_u32 v[83:84], null, 0xdb629599, v88, v[10:11]
	v_mov_b32_e32 v10, v84
	v_cndmask_b32_e32 v81, v83, v81, vcc_lo
	v_mad_u64_u32 v[84:85], null, 0xf534ddc0, v88, v[10:11]
	v_mov_b32_e32 v10, v85
	v_cndmask_b32_e32 v82, v84, v82, vcc_lo
	v_mad_u64_u32 v[85:86], null, 0xfc2757d1, v88, v[10:11]
	v_cndmask_b32_e64 v81, v82, v81, s3
	v_mov_b32_e32 v10, v86
	v_mad_u64_u32 v[86:87], null, 0x4e441529, v88, v[10:11]
	v_mov_b32_e32 v10, v87
	v_cndmask_b32_e32 v90, v86, v84, vcc_lo
	v_mad_u64_u32 v[87:88], null, 0xa2f9836e, v88, v[10:11]
	v_cndmask_b32_e32 v10, v87, v85, vcc_lo
	v_cndmask_b32_e32 v86, v88, v86, vcc_lo
	;; [unrolled: 1-line block ×3, first 2 shown]
	v_sub_nc_u32_e32 v88, 32, v89
	v_cndmask_b32_e64 v87, v10, v90, s3
	v_cndmask_b32_e64 v10, v86, v10, s3
	;; [unrolled: 1-line block ×4, first 2 shown]
	v_cmp_class_f32_e64 s3, v79, 0x1f8
	v_cndmask_b32_e64 v10, v10, v87, s4
	v_cndmask_b32_e64 v87, v87, v86, s4
	v_cndmask_b32_e64 v85, v86, v84, s4
	v_cndmask_b32_e64 v81, v84, v81, s4
	v_alignbit_b32 v89, v10, v87, v88
	v_alignbit_b32 v86, v87, v85, v88
	v_alignbit_b32 v82, v85, v81, v88
	v_cndmask_b32_e64 v10, v89, v10, s5
	v_cndmask_b32_e64 v86, v86, v87, s5
	;; [unrolled: 1-line block ×3, first 2 shown]
	v_bfe_u32 v90, v10, 29, 1
	v_alignbit_b32 v87, v10, v86, 30
	v_alignbit_b32 v83, v86, v82, 30
	;; [unrolled: 1-line block ×3, first 2 shown]
	v_lshrrev_b32_e32 v89, 29, v10
	v_sub_nc_u32_e32 v91, 0, v90
	v_lshrrev_b32_e32 v10, 30, v10
	v_xor_b32_e32 v87, v87, v91
	v_xor_b32_e32 v83, v83, v91
	;; [unrolled: 1-line block ×3, first 2 shown]
	v_add_nc_u32_e32 v95, v90, v10
	v_mul_f32_e64 v10, 0x3f22f983, |v79|
	v_ffbh_u32_e32 v84, v87
	v_rndne_f32_e32 v10, v10
	v_min_u32_e32 v84, 32, v84
	v_fma_f32 v96, 0xbfc90fda, v10, |v79|
	v_sub_nc_u32_e32 v85, 31, v84
	v_cvt_i32_f32_e32 v107, v10
	v_fmac_f32_e32 v96, 0xb3a22168, v10
	v_alignbit_b32 v86, v87, v83, v85
	v_alignbit_b32 v81, v83, v81, v85
	v_fmac_f32_e32 v96, 0xa7c234c4, v10
	v_alignbit_b32 v82, v86, v81, 9
	v_ffbh_u32_e32 v83, v82
	v_min_u32_e32 v83, 32, v83
	v_not_b32_e32 v85, v83
	v_add_lshl_u32 v83, v83, v84, 23
	v_lshlrev_b32_e32 v84, 23, v84
	v_alignbit_b32 v81, v82, v81, v85
	v_lshlrev_b32_e32 v82, 31, v89
	v_lshrrev_b32_e32 v81, 9, v81
	v_or_b32_e32 v85, 0x33000000, v82
	v_or_b32_e32 v82, 0.5, v82
	v_sub_nc_u32_e32 v83, v85, v83
	v_sub_nc_u32_e32 v82, v82, v84
	v_or_b32_e32 v81, v83, v81
	v_lshrrev_b32_e32 v83, 9, v86
	v_or_b32_e32 v82, v83, v82
	v_mul_f32_e32 v83, 0x3fc90fda, v82
	v_fma_f32 v84, 0x3fc90fda, v82, -v83
	v_fmac_f32_e32 v84, 0x33a22168, v82
	v_fmac_f32_e32 v84, 0x3fc90fda, v81
	v_and_b32_e32 v81, 0x7fffffff, v21
	v_add_f32_e32 v93, v83, v84
	v_lshrrev_b32_e32 v0, 23, v81
	v_and_or_b32 v89, v81, s33, 0x800000
	v_add_nc_u32_e32 v0, 0xffffff88, v0
	v_mad_u64_u32 v[82:83], null, 0xfe5163ab, v89, 0
	v_cmp_lt_u32_e32 vcc_lo, 63, v0
	v_cndmask_b32_e64 v10, 0, 0xffffffc0, vcc_lo
	v_add_nc_u32_e32 v0, v10, v0
	v_cmp_lt_u32_e64 s4, 31, v0
	v_cndmask_b32_e64 v10, 0, 0xffffffe0, s4
	v_add_nc_u32_e32 v0, v10, v0
	v_cmp_lt_u32_e64 s5, 31, v0
	v_cndmask_b32_e64 v10, 0, 0xffffffe0, s5
	v_add_nc_u32_e32 v0, v10, v0
	v_mov_b32_e32 v10, v83
	v_cmp_eq_u32_e64 s6, 0, v0
	v_mad_u64_u32 v[83:84], null, 0x3c439041, v89, v[10:11]
	v_sub_nc_u32_e32 v0, 32, v0
	v_mov_b32_e32 v10, v84
	v_mad_u64_u32 v[84:85], null, 0xdb629599, v89, v[10:11]
	v_mov_b32_e32 v10, v85
	v_cndmask_b32_e32 v82, v84, v82, vcc_lo
	v_mad_u64_u32 v[85:86], null, 0xf534ddc0, v89, v[10:11]
	v_mov_b32_e32 v10, v86
	v_cndmask_b32_e32 v83, v85, v83, vcc_lo
	v_mad_u64_u32 v[86:87], null, 0xfc2757d1, v89, v[10:11]
	v_cndmask_b32_e64 v82, v83, v82, s4
	v_mov_b32_e32 v10, v87
	v_mad_u64_u32 v[87:88], null, 0x4e441529, v89, v[10:11]
	v_mov_b32_e32 v10, v88
	v_cndmask_b32_e32 v90, v87, v85, vcc_lo
	v_mad_u64_u32 v[88:89], null, 0xa2f9836e, v89, v[10:11]
	v_cndmask_b32_e32 v10, v88, v86, vcc_lo
	v_cndmask_b32_e32 v87, v89, v87, vcc_lo
	;; [unrolled: 1-line block ×3, first 2 shown]
	v_cndmask_b32_e64 v88, v10, v90, s4
	v_cndmask_b32_e64 v10, v87, v10, s4
	v_cndmask_b32_e64 v87, v90, v86, s4
	v_cndmask_b32_e64 v85, v86, v83, s4
	v_cmp_class_f32_e64 s4, v21, 0x1f8
	v_cndmask_b32_e64 v10, v10, v88, s5
	v_cndmask_b32_e64 v88, v88, v87, s5
	;; [unrolled: 1-line block ×4, first 2 shown]
	v_alignbit_b32 v89, v10, v88, v0
	v_alignbit_b32 v87, v88, v86, v0
	;; [unrolled: 1-line block ×3, first 2 shown]
	v_cndmask_b32_e64 v10, v89, v10, s6
	v_cndmask_b32_e64 v87, v87, v88, s6
	v_cndmask_b32_e64 v0, v0, v86, s6
	v_bfe_u32 v90, v10, 29, 1
	v_alignbit_b32 v88, v10, v87, 30
	v_alignbit_b32 v83, v87, v0, 30
	;; [unrolled: 1-line block ×3, first 2 shown]
	v_lshrrev_b32_e32 v89, 29, v10
	v_sub_nc_u32_e32 v91, 0, v90
	v_xor_b32_e32 v88, v88, v91
	v_xor_b32_e32 v83, v83, v91
	;; [unrolled: 1-line block ×3, first 2 shown]
	v_ffbh_u32_e32 v84, v88
	v_min_u32_e32 v84, 32, v84
	v_sub_nc_u32_e32 v85, 31, v84
	v_alignbit_b32 v86, v88, v83, v85
	v_alignbit_b32 v0, v83, v0, v85
	;; [unrolled: 1-line block ×3, first 2 shown]
	v_ffbh_u32_e32 v83, v82
	v_min_u32_e32 v83, 32, v83
	v_not_b32_e32 v85, v83
	v_add_lshl_u32 v83, v83, v84, 23
	v_lshlrev_b32_e32 v84, 23, v84
	v_alignbit_b32 v0, v82, v0, v85
	v_lshlrev_b32_e32 v82, 31, v89
	v_lshrrev_b32_e32 v0, 9, v0
	v_or_b32_e32 v85, 0x33000000, v82
	v_or_b32_e32 v82, 0.5, v82
	v_sub_nc_u32_e32 v83, v85, v83
	v_sub_nc_u32_e32 v82, v82, v84
	v_or_b32_e32 v0, v83, v0
	v_lshrrev_b32_e32 v83, 9, v86
	v_or_b32_e32 v82, v83, v82
	v_mul_f32_e32 v83, 0x3fc90fda, v82
	v_fma_f32 v84, 0x3fc90fda, v82, -v83
	v_fmac_f32_e32 v84, 0x33a22168, v82
	v_mul_f32_e32 v82, v2, v2
	v_fmac_f32_e32 v84, 0x3fc90fda, v0
	v_lshrrev_b32_e32 v0, 30, v10
	v_add_f32_e32 v10, v2, v2
	v_add_f32_e32 v108, v83, v84
	v_add_nc_u32_e32 v109, v90, v0
	v_mul_f32_e64 v0, 0x3f22f983, |v21|
	v_mul_f32_e32 v10, v2, v10
	v_rndne_f32_e32 v0, v0
	v_cmp_eq_f32_e64 s6, 0, v10
	v_fma_f32 v110, 0xbfc90fda, v0, |v21|
	v_cvt_i32_f32_e32 v111, v0
	v_fmac_f32_e32 v110, 0xb3a22168, v0
	v_fmac_f32_e32 v110, 0xa7c234c4, v0
	v_fma_f32 v0, v2, v2, v20
	v_cvt_f64_f32_e64 v[84:85], |v0|
	v_cmp_eq_f32_e64 vcc_lo, |v0|, |v10|
	v_bfi_b32 v83, 0x7fffffff, 0, v0
	v_cmp_gt_f32_e64 s17, |v0|, |v10|
	v_and_b32_e32 v89, 0x80000000, v0
	v_cmp_class_f32_e64 s7, v0, 0x1f8
	v_cndmask_b32_e32 v83, v0, v83, vcc_lo
	v_cmp_o_f32_e32 vcc_lo, v10, v10
	s_and_b32 s7, vcc_lo, s7
	v_frexp_exp_i32_f64_e32 v87, v[84:85]
	v_frexp_mant_f32_e64 v84, |v0|
	v_fma_f32 v0, -v2, v2, 1.0
	v_cvt_f64_f32_e64 v[85:86], |v10|
	v_ldexp_f32 v84, v84, 12
	v_mul_f32_e32 v90, v0, v20
	v_cndmask_b32_e64 v0, v99, v101, s11
	v_mul_f32_e32 v91, v0, v0
	v_fmaak_f32 v99, s27, v91, 0x3c0881c4
	v_fmaak_f32 v99, v91, v99, 0xbe2aaa9d
	v_frexp_exp_i32_f64_e32 v88, v[85:86]
	v_frexp_mant_f32_e64 v86, |v10|
	v_cndmask_b32_e64 v10, v100, v102, s11
	v_mul_f32_e32 v99, v91, v99
	v_ldexp_f32 v86, v86, 1
	v_fmac_f32_e32 v0, v0, v99
	v_fmaak_f32 v99, s34, v91, 0xbab64f3b
	v_fmaak_f32 v99, v91, v99, 0x3d2aabf7
	;; [unrolled: 1-line block ×3, first 2 shown]
	v_add_nc_u32_e32 v85, -1, v88
	v_sub_nc_u32_e32 v87, v87, v88
	v_fma_f32 v91, v91, v99, 1.0
	v_and_b32_e32 v99, 1, v10
	v_lshlrev_b32_e32 v10, 30, v10
	v_rcp_f32_e32 v88, v86
	v_cmp_lt_i32_e64 s5, 12, v87
	v_cmp_eq_u32_e32 vcc_lo, 0, v99
	v_and_b32_e32 v10, 0x80000000, v10
	v_cndmask_b32_e32 v0, v91, v0, vcc_lo
	v_xor_b32_e32 v10, v10, v97
	v_xor3_b32 v0, v10, v0, v98
	v_cndmask_b32_e64 v10, v104, v106, s8
	v_cndmask_b32_e64 v0, 0x7fc00000, v0, s15
	v_fma_f32 v2, v2, v0, v19
	v_cndmask_b32_e64 v0, v103, v105, s8
	v_mul_f32_e32 v91, v0, v0
	v_fmaak_f32 v97, s27, v91, 0x3c0881c4
	v_fmaak_f32 v97, v91, v97, 0xbe2aaa9d
	v_mul_f32_e32 v97, v91, v97
	v_fmac_f32_e32 v0, v0, v97
	v_fmaak_f32 v97, s34, v91, 0xbab64f3b
	v_fmaak_f32 v97, v91, v97, 0x3d2aabf7
	;; [unrolled: 1-line block ×3, first 2 shown]
	v_fma_f32 v91, v91, v97, 1.0
	v_and_b32_e32 v97, 1, v10
	v_lshlrev_b32_e32 v10, 30, v10
	v_cmp_eq_u32_e32 vcc_lo, 0, v97
	v_and_b32_e32 v10, 0x80000000, v10
	v_cndmask_b32_e32 v0, v91, v0, vcc_lo
	v_xor_b32_e32 v10, v10, v92
	v_xor3_b32 v0, v10, v0, v94
	v_cndmask_b32_e64 v0, 0x7fc00000, v0, s13
	v_fma_f32 v91, v17, v0, v3
	v_div_scale_f32 v0, null, v82, v82, v3
	v_rcp_f32_e32 v10, v0
	v_fma_f32 v92, -v0, v10, 1.0
	v_fmac_f32_e32 v10, v92, v10
	v_div_scale_f32 v92, vcc_lo, v3, v82, v3
	v_mul_f32_e32 v94, v92, v10
	v_fma_f32 v97, -v0, v94, v92
	v_fmac_f32_e32 v94, v97, v10
	v_fma_f32 v0, -v0, v94, v92
	v_div_fmas_f32 v0, v0, v10, v94
	v_div_fixup_f32 v101, v0, v82, v3
	v_and_b32_e32 v106, 0x7fffffff, v101
	v_cmp_gt_f32_e64 s11, 0x48000000, |v101|
	v_lshrrev_b32_e32 v0, 23, v106
	v_and_or_b32 v92, v106, s33, 0x800000
	v_add_nc_u32_e32 v0, 0xffffff88, v0
	v_mad_u64_u32 v[104:105], null, 0xfe5163ab, v92, 0
	v_cmp_lt_u32_e64 s13, 63, v0
	v_cndmask_b32_e64 v10, 0, 0xffffffc0, s13
	v_add_nc_u32_e32 v0, v10, v0
	v_cmp_lt_u32_e64 s12, 31, v0
	v_cndmask_b32_e64 v10, 0, 0xffffffe0, s12
	v_add_nc_u32_e32 v0, v10, v0
	;; [unrolled: 3-line block ×3, first 2 shown]
	v_mov_b32_e32 v10, v105
	v_cmp_eq_u32_e32 vcc_lo, 0, v0
	v_mad_u64_u32 v[98:99], null, 0x3c439041, v92, v[10:11]
	v_mov_b32_e32 v10, v99
	v_mad_u64_u32 v[112:113], null, 0xdb629599, v92, v[10:11]
	v_mov_b32_e32 v10, v113
	v_cndmask_b32_e64 v104, v112, v104, s13
	v_mad_u64_u32 v[99:100], null, 0xf534ddc0, v92, v[10:11]
	v_mov_b32_e32 v10, v100
	v_mad_u64_u32 v[102:103], null, 0xfc2757d1, v92, v[10:11]
	v_mov_b32_e32 v10, v103
	v_cndmask_b32_e64 v100, v102, v112, s13
	v_cndmask_b32_e64 v103, v99, v98, s13
	v_mad_u64_u32 v[113:114], null, 0x4e441529, v92, v[10:11]
	v_mov_b32_e32 v10, v114
	v_cndmask_b32_e64 v94, v113, v99, s13
	v_mad_u64_u32 v[114:115], null, 0xa2f9836e, v92, v[10:11]
	v_cndmask_b32_e64 v10, v114, v102, s13
	v_cndmask_b32_e64 v97, v115, v113, s13
	;; [unrolled: 1-line block ×7, first 2 shown]
	v_sub_nc_u32_e32 v97, 32, v0
	v_cmp_class_f32_e64 s12, v101, 0x1f8
	v_cndmask_b32_e64 v10, v10, v92, s8
	v_cndmask_b32_e64 v92, v92, v94, s8
	;; [unrolled: 1-line block ×4, first 2 shown]
	v_alignbit_b32 v0, v10, v92, v97
	v_cndmask_b32_e32 v0, v0, v10, vcc_lo
	v_alignbit_b32 v10, v92, v98, v97
	v_alignbit_b32 v97, v98, v102, v97
	v_cndmask_b32_e32 v99, v10, v92, vcc_lo
	v_bfe_u32 v10, v0, 29, 1
	v_cndmask_b32_e32 v97, v97, v98, vcc_lo
	v_lshrrev_b32_e32 v92, 29, v0
	v_alignbit_b32 v100, v0, v99, 30
	v_sub_nc_u32_e32 v94, 0, v10
	v_alignbit_b32 v98, v99, v97, 30
	v_alignbit_b32 v97, v97, v102, 30
	v_lshrrev_b32_e32 v0, 30, v0
	v_lshlrev_b32_e32 v92, 31, v92
	v_xor_b32_e32 v100, v100, v94
	v_xor_b32_e32 v98, v98, v94
	;; [unrolled: 1-line block ×3, first 2 shown]
	v_add_nc_u32_e32 v112, v10, v0
	v_mul_f32_e64 v0, 0x3f22f983, |v101|
	v_ffbh_u32_e32 v99, v100
	v_rndne_f32_e32 v0, v0
	v_min_u32_e32 v99, 32, v99
	v_fma_f32 v115, 0xbfc90fda, v0, |v101|
	v_sub_nc_u32_e32 v103, 31, v99
	v_cvt_i32_f32_e32 v113, v0
	v_fmac_f32_e32 v115, 0xb3a22168, v0
	v_alignbit_b32 v100, v100, v98, v103
	v_alignbit_b32 v94, v98, v94, v103
	v_fmac_f32_e32 v115, 0xa7c234c4, v0
	v_mul_f32_e32 v0, v17, v17
	v_alignbit_b32 v97, v100, v94, 9
	v_div_scale_f32 v10, null, v0, v0, v19
	v_ffbh_u32_e32 v98, v97
	v_rcp_f32_e32 v17, v10
	v_min_u32_e32 v98, 32, v98
	v_not_b32_e32 v102, v98
	v_add_lshl_u32 v98, v98, v99, 23
	v_alignbit_b32 v94, v97, v94, v102
	v_or_b32_e32 v97, 0x33000000, v92
	v_or_b32_e32 v92, 0.5, v92
	v_lshrrev_b32_e32 v94, 9, v94
	v_sub_nc_u32_e32 v97, v97, v98
	v_lshlrev_b32_e32 v98, 23, v99
	v_or_b32_e32 v94, v97, v94
	v_lshrrev_b32_e32 v97, 9, v100
	v_sub_nc_u32_e32 v92, v92, v98
	v_or_b32_e32 v92, v97, v92
	v_mul_f32_e32 v97, 0x3fc90fda, v92
	v_fma_f32 v98, 0x3fc90fda, v92, -v97
	v_fmac_f32_e32 v98, 0x33a22168, v92
	v_fma_f32 v92, -v10, v17, 1.0
	v_fmac_f32_e32 v98, 0x3fc90fda, v94
	v_fmac_f32_e32 v17, v92, v17
	v_div_scale_f32 v92, vcc_lo, v19, v0, v19
	v_add_f32_e32 v114, v97, v98
	v_mul_f32_e32 v94, v92, v17
	v_fma_f32 v97, -v10, v94, v92
	v_fmac_f32_e32 v94, v97, v17
	v_fma_f32 v10, -v10, v94, v92
	v_div_fmas_f32 v10, v10, v17, v94
	v_div_fixup_f32 v0, v10, v0, v19
	v_and_b32_e32 v102, 0x7fffffff, v0
	v_cmp_gt_f32_e64 vcc_lo, 0x48000000, |v0|
	v_lshrrev_b32_e32 v10, 23, v102
	v_and_or_b32 v92, v102, s33, 0x800000
	v_add_nc_u32_e32 v10, 0xffffff88, v10
	v_mad_u64_u32 v[97:98], null, 0xfe5163ab, v92, 0
	v_cmp_lt_u32_e64 s8, 63, v10
	v_cndmask_b32_e64 v17, 0, 0xffffffc0, s8
	v_add_nc_u32_e32 v10, v17, v10
	v_cmp_lt_u32_e64 s13, 31, v10
	v_cndmask_b32_e64 v17, 0, 0xffffffe0, s13
	v_add_nc_u32_e32 v10, v17, v10
	;; [unrolled: 3-line block ×3, first 2 shown]
	v_mov_b32_e32 v10, v98
	v_cmp_eq_u32_e64 s15, 0, v17
	v_mad_u64_u32 v[98:99], null, 0x3c439041, v92, v[10:11]
	v_sub_nc_u32_e32 v17, 32, v17
	v_mov_b32_e32 v10, v99
	v_mad_u64_u32 v[99:100], null, 0xdb629599, v92, v[10:11]
	v_mov_b32_e32 v10, v100
	v_cndmask_b32_e64 v97, v99, v97, s8
	v_mad_u64_u32 v[103:104], null, 0xf534ddc0, v92, v[10:11]
	v_mov_b32_e32 v10, v104
	v_cndmask_b32_e64 v98, v103, v98, s8
	v_mad_u64_u32 v[104:105], null, 0xfc2757d1, v92, v[10:11]
	v_cndmask_b32_e64 v97, v98, v97, s13
	v_mov_b32_e32 v10, v105
	v_mad_u64_u32 v[116:117], null, 0x4e441529, v92, v[10:11]
	v_mov_b32_e32 v10, v117
	v_cndmask_b32_e64 v94, v116, v103, s8
	v_mad_u64_u32 v[117:118], null, 0xa2f9836e, v92, v[10:11]
	v_cndmask_b32_e64 v10, v117, v104, s8
	v_cndmask_b32_e64 v100, v118, v116, s8
	;; [unrolled: 1-line block ×5, first 2 shown]
	v_cmp_class_f32_e64 s8, v0, 0x1f8
	v_cndmask_b32_e64 v10, v10, v92, s14
	v_cndmask_b32_e64 v94, v94, v100, s13
	;; [unrolled: 1-line block ×6, first 2 shown]
	v_alignbit_b32 v104, v10, v92, v17
	v_alignbit_b32 v103, v92, v94, v17
	;; [unrolled: 1-line block ×3, first 2 shown]
	v_cndmask_b32_e64 v10, v104, v10, s15
	v_cndmask_b32_e64 v92, v103, v92, s15
	;; [unrolled: 1-line block ×3, first 2 shown]
	v_bfe_u32 v105, v10, 29, 1
	v_alignbit_b32 v103, v10, v92, 30
	v_alignbit_b32 v92, v92, v17, 30
	;; [unrolled: 1-line block ×3, first 2 shown]
	v_lshrrev_b32_e32 v104, 29, v10
	v_sub_nc_u32_e32 v116, 0, v105
	v_lshrrev_b32_e32 v10, 30, v10
	v_xor_b32_e32 v103, v103, v116
	v_xor_b32_e32 v92, v92, v116
	;; [unrolled: 1-line block ×3, first 2 shown]
	v_add_nc_u32_e32 v10, v105, v10
	v_ffbh_u32_e32 v94, v103
	v_min_u32_e32 v94, 32, v94
	v_sub_nc_u32_e32 v98, 31, v94
	v_alignbit_b32 v99, v103, v92, v98
	v_alignbit_b32 v17, v92, v17, v98
	;; [unrolled: 1-line block ×3, first 2 shown]
	v_ffbh_u32_e32 v97, v92
	v_min_u32_e32 v97, 32, v97
	v_not_b32_e32 v98, v97
	v_add_lshl_u32 v97, v97, v94, 23
	v_lshlrev_b32_e32 v94, 23, v94
	v_alignbit_b32 v17, v92, v17, v98
	v_lshlrev_b32_e32 v92, 31, v104
	v_lshrrev_b32_e32 v17, 9, v17
	v_or_b32_e32 v98, 0x33000000, v92
	v_or_b32_e32 v92, 0.5, v92
	v_sub_nc_u32_e32 v97, v98, v97
	v_sub_nc_u32_e32 v92, v92, v94
	v_or_b32_e32 v17, v97, v17
	v_lshrrev_b32_e32 v97, 9, v99
	v_cndmask_b32_e64 v99, v109, v111, s10
	v_or_b32_e32 v92, v97, v92
	v_mul_f32_e32 v94, 0x3fc90fda, v92
	v_fma_f32 v97, 0x3fc90fda, v92, -v94
	v_fmac_f32_e32 v97, 0x33a22168, v92
	v_fmac_f32_e32 v97, 0x3fc90fda, v17
	v_mul_f32_e64 v17, 0x3f22f983, |v0|
	v_add_f32_e32 v103, v94, v97
	v_rndne_f32_e32 v17, v17
	v_cndmask_b32_e64 v94, v95, v107, s9
	v_cndmask_b32_e64 v107, v114, v115, s11
	v_fma_f32 v105, 0xbfc90fda, v17, |v0|
	v_cvt_i32_f32_e32 v104, v17
	v_mul_f32_e32 v109, v107, v107
	v_fmac_f32_e32 v105, 0xb3a22168, v17
	v_cndmask_b32_e32 v10, v10, v104, vcc_lo
	v_fmac_f32_e32 v105, 0xa7c234c4, v17
	v_cndmask_b32_e64 v17, v93, v96, s9
	v_cndmask_b32_e64 v96, v108, v110, s10
	v_fmaak_f32 v110, s27, v109, 0x3c0881c4
	v_cndmask_b32_e64 v108, v112, v113, s11
	v_mul_f32_e32 v92, v17, v17
	v_mul_f32_e32 v97, v96, v96
	v_fmaak_f32 v110, v109, v110, 0xbe2aaa9d
	v_fmaak_f32 v93, s27, v92, 0x3c0881c4
	;; [unrolled: 1-line block ×3, first 2 shown]
	v_mul_f32_e32 v110, v109, v110
	v_fmaak_f32 v93, v92, v93, 0xbe2aaa9d
	v_fmaak_f32 v98, v97, v98, 0xbe2aaa9d
	v_fmac_f32_e32 v107, v107, v110
	v_fmaak_f32 v110, s34, v109, 0xbab64f3b
	v_mul_f32_e32 v93, v92, v93
	v_mul_f32_e32 v98, v97, v98
	v_fmaak_f32 v110, v109, v110, 0x3d2aabf7
	v_fmac_f32_e32 v17, v17, v93
	v_fmaak_f32 v93, s34, v92, 0xbab64f3b
	v_fmac_f32_e32 v96, v96, v98
	v_fmaak_f32 v98, s34, v97, 0xbab64f3b
	v_fmaak_f32 v110, v109, v110, 0xbf000004
	;; [unrolled: 1-line block ×4, first 2 shown]
	v_fma_f32 v109, v109, v110, 1.0
	v_and_b32_e32 v110, 1, v108
	v_fmaak_f32 v93, v92, v93, 0xbf000004
	v_lshlrev_b32_e32 v108, 30, v108
	v_fmaak_f32 v98, v97, v98, 0xbf000004
	v_fma_f32 v92, v92, v93, 1.0
	v_and_b32_e32 v93, 1, v94
	v_fma_f32 v97, v97, v98, 1.0
	v_and_b32_e32 v98, 1, v99
	v_and_b32_e32 v108, 0x80000000, v108
	v_lshlrev_b32_e32 v94, 30, v94
	v_cmp_eq_u32_e64 s9, 0, v93
	v_lshlrev_b32_e32 v99, 30, v99
	v_xor_b32_e32 v101, v108, v101
	v_and_b32_e32 v94, 0x80000000, v94
	v_cndmask_b32_e64 v95, -v17, v92, s9
	v_cmp_eq_u32_e64 s9, 0, v98
	v_and_b32_e32 v99, 0x80000000, v99
	v_xor_b32_e32 v95, v94, v95
	v_cndmask_b32_e64 v100, -v96, v97, s9
	v_cmp_eq_u32_e64 s9, 0, v110
	v_cndmask_b32_e64 v95, 0x7fc00000, v95, s3
	v_xor_b32_e32 v100, v99, v100
	v_cndmask_b32_e64 v107, v109, v107, s9
	v_cndmask_b32_e64 v100, 0x7fc00000, v100, s4
	v_xor3_b32 v101, v101, v107, v106
                                        ; implicit-def: $vgpr106
	v_cndmask_b32_e64 v101, 0x7fc00000, v101, s12
	v_fma_f32 v101, v1, v101, v19
	v_cndmask_b32_e32 v1, v103, v105, vcc_lo
                                        ; implicit-def: $vgpr105
	v_mul_f32_e32 v103, v1, v1
	v_fmaak_f32 v104, s27, v103, 0x3c0881c4
	v_fmaak_f32 v104, v103, v104, 0xbe2aaa9d
	v_mul_f32_e32 v104, v103, v104
	v_fmac_f32_e32 v1, v1, v104
	v_fmaak_f32 v104, s34, v103, 0xbab64f3b
	v_fmaak_f32 v104, v103, v104, 0x3d2aabf7
	;; [unrolled: 1-line block ×3, first 2 shown]
	v_fma_f32 v103, v103, v104, 1.0
	v_and_b32_e32 v104, 1, v10
	v_lshlrev_b32_e32 v10, 30, v10
	v_cmp_eq_u32_e32 vcc_lo, 0, v104
	v_and_b32_e32 v10, 0x80000000, v10
	v_cndmask_b32_e32 v1, v103, v1, vcc_lo
	v_xor_b32_e32 v0, v10, v0
	v_xor3_b32 v0, v0, v1, v102
	v_mov_b32_e32 v102, 0
	v_cndmask_b32_e64 v0, 0x7fc00000, v0, s8
	v_fma_f32 v103, v16, v0, v3
	v_mov_b32_e32 v16, 0
	s_branch .LBB1_29
.LBB1_22:                               ;   in Loop: Header=BB1_29 Depth=1
	s_or_b32 exec_lo, exec_lo, s14
	v_mov_b32_e32 v1, v106
	v_mov_b32_e32 v10, v105
.LBB1_23:                               ;   in Loop: Header=BB1_29 Depth=1
	s_or_b32 exec_lo, exec_lo, s13
.LBB1_24:                               ;   in Loop: Header=BB1_29 Depth=1
	s_or_b32 exec_lo, exec_lo, s12
.LBB1_25:                               ;   in Loop: Header=BB1_29 Depth=1
	s_or_b32 exec_lo, exec_lo, s9
.LBB1_26:                               ;   in Loop: Header=BB1_29 Depth=1
	s_or_b32 exec_lo, exec_lo, s8
	v_mov_b32_e32 v105, v10
	v_mov_b32_e32 v106, v1
.LBB1_27:                               ;   in Loop: Header=BB1_29 Depth=1
	s_or_b32 exec_lo, exec_lo, s11
	v_fmac_f32_e32 v16, v104, v105
	v_fmac_f32_e32 v102, v104, v106
.LBB1_28:                               ;   in Loop: Header=BB1_29 Depth=1
	s_or_b32 exec_lo, exec_lo, s10
	s_add_i32 s30, s30, 1
	s_cmp_lg_u32 s30, 5
	s_cbranch_scc0 .LBB1_247
.LBB1_29:                               ; =>This Loop Header: Depth=1
                                        ;     Child Loop BB1_149 Depth 2
                                        ;     Child Loop BB1_162 Depth 2
	s_lshl_b64 s[8:9], s[30:31], 3
	s_mov_b32 s10, exec_lo
	v_add_co_u32 v0, vcc_lo, v22, s8
	v_add_co_ci_u32_e64 v1, null, s9, v23, vcc_lo
	global_load_dword v104, v[0:1], off offset:4
	s_waitcnt vmcnt(0)
	v_cmpx_ngt_f32_e64 0x3c23d70a, |v104|
	s_cbranch_execz .LBB1_28
; %bb.30:                               ;   in Loop: Header=BB1_29 Depth=1
	global_load_dword v0, v[0:1], off
	s_mov_b32 s8, exec_lo
	s_waitcnt vmcnt(0)
	v_cmpx_lt_i32_e32 17, v0
	s_xor_b32 s11, exec_lo, s8
	s_cbranch_execz .LBB1_176
; %bb.31:                               ;   in Loop: Header=BB1_29 Depth=1
	s_mov_b32 s8, exec_lo
	v_cmpx_lt_i32_e32 33, v0
	s_xor_b32 s12, exec_lo, s8
	s_cbranch_execz .LBB1_117
; %bb.32:                               ;   in Loop: Header=BB1_29 Depth=1
	s_mov_b32 s8, exec_lo
	;; [unrolled: 5-line block ×6, first 2 shown]
	v_cmpx_eq_u32_e32 48, v0
; %bb.37:                               ;   in Loop: Header=BB1_29 Depth=1
	v_mov_b32_e32 v106, v25
	v_mov_b32_e32 v105, v24
; %bb.38:                               ;   in Loop: Header=BB1_29 Depth=1
	s_or_b32 exec_lo, exec_lo, s9
.LBB1_39:                               ;   in Loop: Header=BB1_29 Depth=1
	s_andn2_saveexec_b32 s18, s8
	s_cbranch_execz .LBB1_49
; %bb.40:                               ;   in Loop: Header=BB1_29 Depth=1
	global_load_dword v0, v[12:13], off
                                        ; implicit-def: $vgpr106
                                        ; implicit-def: $vgpr105
	s_waitcnt vmcnt(0)
	v_mul_f32_e32 v0, v20, v0
	v_mul_f32_e32 v0, v104, v0
	v_and_b32_e32 v1, 0x7fffffff, v0
	v_cmp_ngt_f32_e64 s19, 0x48000000, |v0|
	v_lshrrev_b32_e32 v10, 23, v1
	v_and_or_b32 v107, v1, s33, 0x800000
	v_add_nc_u32_e32 v108, 0xffffff88, v10
	s_and_saveexec_b32 s8, s19
	s_xor_b32 s20, exec_lo, s8
	s_cbranch_execz .LBB1_42
; %bb.41:                               ;   in Loop: Header=BB1_29 Depth=1
	v_mad_u64_u32 v[105:106], null, 0xfe5163ab, v107, 0
	v_cmp_lt_u32_e32 vcc_lo, 63, v108
	v_mov_b32_e32 v10, v106
	v_cndmask_b32_e64 v106, 0, 0xffffffc0, vcc_lo
	v_mad_u64_u32 v[109:110], null, 0x3c439041, v107, v[10:11]
	v_add_nc_u32_e32 v106, v106, v108
	v_cmp_lt_u32_e64 s8, 31, v106
	v_mov_b32_e32 v10, v110
	v_cndmask_b32_e64 v115, 0, 0xffffffe0, s8
	v_mad_u64_u32 v[110:111], null, 0xdb629599, v107, v[10:11]
	v_add_nc_u32_e32 v106, v115, v106
	v_mov_b32_e32 v10, v111
	v_cmp_lt_u32_e64 s9, 31, v106
	v_cndmask_b32_e32 v105, v110, v105, vcc_lo
	v_mad_u64_u32 v[111:112], null, 0xf534ddc0, v107, v[10:11]
	v_mov_b32_e32 v10, v112
	v_mad_u64_u32 v[112:113], null, 0xfc2757d1, v107, v[10:11]
	v_mov_b32_e32 v10, v113
	;; [unrolled: 2-line block ×3, first 2 shown]
	v_cndmask_b32_e32 v116, v113, v111, vcc_lo
	v_mad_u64_u32 v[114:115], null, 0xa2f9836e, v107, v[10:11]
	v_cndmask_b32_e64 v10, 0, 0xffffffe0, s9
	v_add_nc_u32_e32 v10, v10, v106
	v_cndmask_b32_e32 v114, v114, v112, vcc_lo
	v_cndmask_b32_e32 v113, v115, v113, vcc_lo
	;; [unrolled: 1-line block ×4, first 2 shown]
	v_cmp_eq_u32_e32 vcc_lo, 0, v10
	v_cndmask_b32_e64 v109, v114, v116, s8
	v_cndmask_b32_e64 v111, v113, v114, s8
	v_cndmask_b32_e64 v113, v116, v112, s8
	v_sub_nc_u32_e32 v114, 32, v10
	v_cndmask_b32_e64 v112, v112, v106, s8
	v_cndmask_b32_e64 v105, v106, v105, s8
	v_cndmask_b32_e64 v111, v111, v109, s9
	v_cndmask_b32_e64 v109, v109, v113, s9
	v_cndmask_b32_e64 v113, v113, v112, s9
	v_cndmask_b32_e64 v105, v112, v105, s9
	v_alignbit_b32 v115, v111, v109, v114
	v_alignbit_b32 v110, v109, v113, v114
	;; [unrolled: 1-line block ×3, first 2 shown]
	v_cndmask_b32_e32 v10, v115, v111, vcc_lo
	v_cndmask_b32_e32 v106, v110, v109, vcc_lo
	;; [unrolled: 1-line block ×3, first 2 shown]
	v_bfe_u32 v109, v10, 29, 1
	v_alignbit_b32 v110, v10, v106, 30
	v_alignbit_b32 v106, v106, v112, 30
	;; [unrolled: 1-line block ×3, first 2 shown]
	v_sub_nc_u32_e32 v111, 0, v109
	v_xor_b32_e32 v110, v110, v111
	v_xor_b32_e32 v106, v106, v111
	;; [unrolled: 1-line block ×3, first 2 shown]
	v_lshrrev_b32_e32 v111, 29, v10
	v_lshrrev_b32_e32 v10, 30, v10
	v_ffbh_u32_e32 v113, v110
	v_min_u32_e32 v113, 32, v113
	v_sub_nc_u32_e32 v112, 31, v113
	v_lshlrev_b32_e32 v114, 23, v113
	v_alignbit_b32 v110, v110, v106, v112
	v_alignbit_b32 v105, v106, v105, v112
	v_lshlrev_b32_e32 v106, 31, v111
	v_alignbit_b32 v111, v110, v105, 9
	v_or_b32_e32 v112, 0.5, v106
	v_lshrrev_b32_e32 v110, 9, v110
	v_or_b32_e32 v106, 0x33000000, v106
	v_ffbh_u32_e32 v115, v111
	v_sub_nc_u32_e32 v112, v112, v114
	v_min_u32_e32 v114, 32, v115
	v_or_b32_e32 v110, v110, v112
	v_not_b32_e32 v112, v114
	v_mul_f32_e32 v115, 0x3fc90fda, v110
	v_add_lshl_u32 v113, v114, v113, 23
	v_alignbit_b32 v105, v111, v105, v112
	v_fma_f32 v111, 0x3fc90fda, v110, -v115
	v_sub_nc_u32_e32 v106, v106, v113
	v_lshrrev_b32_e32 v105, 9, v105
	v_fmac_f32_e32 v111, 0x33a22168, v110
	v_or_b32_e32 v105, v106, v105
	v_add_nc_u32_e32 v106, v109, v10
	v_fmac_f32_e32 v111, 0x3fc90fda, v105
	v_add_f32_e32 v105, v115, v111
.LBB1_42:                               ;   in Loop: Header=BB1_29 Depth=1
	s_or_saveexec_b32 s8, s20
	v_mul_f32_e64 v10, 0x3f22f983, |v0|
	v_rndne_f32_e32 v110, v10
	s_xor_b32 exec_lo, exec_lo, s8
; %bb.43:                               ;   in Loop: Header=BB1_29 Depth=1
	v_fma_f32 v105, 0xbfc90fda, v110, |v0|
	v_cvt_i32_f32_e32 v106, v110
	v_fmac_f32_e32 v105, 0xb3a22168, v110
	v_fmac_f32_e32 v105, 0xa7c234c4, v110
; %bb.44:                               ;   in Loop: Header=BB1_29 Depth=1
	s_or_b32 exec_lo, exec_lo, s8
                                        ; implicit-def: $vgpr109
                                        ; implicit-def: $vgpr10
	s_and_saveexec_b32 s8, s19
	s_xor_b32 s19, exec_lo, s8
	s_cbranch_execz .LBB1_46
; %bb.45:                               ;   in Loop: Header=BB1_29 Depth=1
	v_mad_u64_u32 v[109:110], null, 0xfe5163ab, v107, 0
	v_cmp_lt_u32_e32 vcc_lo, 63, v108
	v_cndmask_b32_e64 v115, 0, 0xffffffc0, vcc_lo
	v_mov_b32_e32 v10, v110
	v_add_nc_u32_e32 v108, v115, v108
	v_mad_u64_u32 v[110:111], null, 0x3c439041, v107, v[10:11]
	v_cmp_lt_u32_e64 s8, 31, v108
	v_mov_b32_e32 v10, v111
	v_cndmask_b32_e64 v116, 0, 0xffffffe0, s8
	v_mad_u64_u32 v[111:112], null, 0xdb629599, v107, v[10:11]
	v_mov_b32_e32 v10, v112
	v_cndmask_b32_e32 v109, v111, v109, vcc_lo
	v_mad_u64_u32 v[112:113], null, 0xf534ddc0, v107, v[10:11]
	v_mov_b32_e32 v10, v113
	v_cndmask_b32_e32 v110, v112, v110, vcc_lo
	v_mad_u64_u32 v[113:114], null, 0xfc2757d1, v107, v[10:11]
	v_mov_b32_e32 v10, v114
	v_mad_u64_u32 v[114:115], null, 0x4e441529, v107, v[10:11]
	v_mov_b32_e32 v10, v115
	v_add_nc_u32_e32 v115, v116, v108
	v_cndmask_b32_e32 v116, v114, v112, vcc_lo
	v_mad_u64_u32 v[107:108], null, 0xa2f9836e, v107, v[10:11]
	v_cmp_lt_u32_e64 s9, 31, v115
	v_cndmask_b32_e64 v10, 0, 0xffffffe0, s9
	v_cndmask_b32_e32 v107, v107, v113, vcc_lo
	v_cndmask_b32_e32 v108, v108, v114, vcc_lo
	;; [unrolled: 1-line block ×3, first 2 shown]
	v_add_nc_u32_e32 v10, v10, v115
	v_cndmask_b32_e64 v112, v107, v116, s8
	v_cndmask_b32_e64 v107, v108, v107, s8
	;; [unrolled: 1-line block ×4, first 2 shown]
	v_sub_nc_u32_e32 v114, 32, v10
	v_cmp_eq_u32_e32 vcc_lo, 0, v10
	v_cndmask_b32_e64 v107, v107, v112, s9
	v_cndmask_b32_e64 v112, v112, v108, s9
	;; [unrolled: 1-line block ×3, first 2 shown]
	v_alignbit_b32 v115, v107, v112, v114
	v_alignbit_b32 v111, v112, v108, v114
	v_cndmask_b32_e32 v10, v115, v107, vcc_lo
	v_cndmask_b32_e64 v107, v110, v109, s8
	v_cndmask_b32_e32 v109, v111, v112, vcc_lo
	v_bfe_u32 v110, v10, 29, 1
	v_cndmask_b32_e64 v107, v113, v107, s9
	v_alignbit_b32 v111, v10, v109, 30
	v_sub_nc_u32_e32 v112, 0, v110
	v_alignbit_b32 v113, v108, v107, v114
	v_xor_b32_e32 v111, v111, v112
	v_cndmask_b32_e32 v108, v113, v108, vcc_lo
	v_ffbh_u32_e32 v113, v111
	v_alignbit_b32 v109, v109, v108, 30
	v_alignbit_b32 v107, v108, v107, 30
	v_min_u32_e32 v113, 32, v113
	v_xor_b32_e32 v108, v109, v112
	v_xor_b32_e32 v107, v107, v112
	v_lshrrev_b32_e32 v112, 29, v10
	v_sub_nc_u32_e32 v109, 31, v113
	v_lshlrev_b32_e32 v114, 23, v113
	v_alignbit_b32 v111, v111, v108, v109
	v_alignbit_b32 v107, v108, v107, v109
	v_lshlrev_b32_e32 v108, 31, v112
	v_alignbit_b32 v109, v111, v107, 9
	v_or_b32_e32 v112, 0.5, v108
	v_lshrrev_b32_e32 v111, 9, v111
	v_or_b32_e32 v108, 0x33000000, v108
	v_ffbh_u32_e32 v115, v109
	v_sub_nc_u32_e32 v112, v112, v114
	v_min_u32_e32 v114, 32, v115
	v_or_b32_e32 v111, v111, v112
	v_not_b32_e32 v112, v114
	v_mul_f32_e32 v115, 0x3fc90fda, v111
	v_add_lshl_u32 v113, v114, v113, 23
	v_alignbit_b32 v107, v109, v107, v112
	v_fma_f32 v109, 0x3fc90fda, v111, -v115
	v_sub_nc_u32_e32 v108, v108, v113
	v_lshrrev_b32_e32 v107, 9, v107
	v_fmac_f32_e32 v109, 0x33a22168, v111
	v_or_b32_e32 v107, v108, v107
	v_fmac_f32_e32 v109, 0x3fc90fda, v107
	v_lshrrev_b32_e32 v107, 30, v10
	v_add_f32_e32 v10, v115, v109
	v_add_nc_u32_e32 v109, v110, v107
                                        ; implicit-def: $vgpr110
	s_andn2_saveexec_b32 s8, s19
	s_cbranch_execnz .LBB1_47
	s_branch .LBB1_48
.LBB1_46:                               ;   in Loop: Header=BB1_29 Depth=1
	s_andn2_saveexec_b32 s8, s19
.LBB1_47:                               ;   in Loop: Header=BB1_29 Depth=1
	v_fma_f32 v10, 0xbfc90fda, v110, |v0|
	v_cvt_i32_f32_e32 v109, v110
	v_fmac_f32_e32 v10, 0xb3a22168, v110
	v_fmac_f32_e32 v10, 0xa7c234c4, v110
.LBB1_48:                               ;   in Loop: Header=BB1_29 Depth=1
	s_or_b32 exec_lo, exec_lo, s8
	v_mul_f32_e32 v107, v0, v0
	v_mul_f32_e32 v110, v105, v105
	v_and_b32_e32 v111, 1, v106
	v_and_b32_e32 v112, 1, v109
	v_lshlrev_b32_e32 v106, 30, v106
	v_cmp_gt_f32_e32 vcc_lo, 0x800000, v107
	v_fmaak_f32 v113, s27, v110, 0x3c0881c4
	v_fmaak_f32 v114, s34, v110, 0xbab64f3b
	v_cmp_eq_u32_e64 s8, 0, v111
	v_lshlrev_b32_e32 v109, 30, v109
	v_cndmask_b32_e64 v108, 0, 32, vcc_lo
	v_fmaak_f32 v113, v110, v113, 0xbe2aaa9d
	v_fmaak_f32 v114, v110, v114, 0x3d2aabf7
	v_xor_b32_e32 v1, v1, v0
	v_and_b32_e32 v106, 0x80000000, v106
	v_ldexp_f32 v107, v107, v108
	v_mul_f32_e32 v108, v10, v10
	v_mul_f32_e32 v113, v110, v113
	v_fmaak_f32 v114, v110, v114, 0xbf000004
	v_and_b32_e32 v109, 0x80000000, v109
	v_log_f32_e32 v107, v107
	v_fmaak_f32 v115, s27, v108, 0x3c0881c4
	v_fmaak_f32 v116, s34, v108, 0xbab64f3b
	v_fmac_f32_e32 v105, v105, v113
	v_fma_f32 v110, v110, v114, 1.0
	v_fmaak_f32 v115, v108, v115, 0xbe2aaa9d
	v_fmaak_f32 v116, v108, v116, 0x3d2aabf7
	v_cndmask_b32_e64 v105, -v105, v110, s8
	v_mul_f32_e32 v117, 0x3e9a209a, v107
	v_mul_f32_e32 v115, v108, v115
	v_fmaak_f32 v116, v108, v116, 0xbf000004
	v_cmp_eq_u32_e64 s8, 0, v112
	v_xor_b32_e32 v105, v106, v105
	v_fma_f32 v117, 0x3e9a209a, v107, -v117
	v_fmac_f32_e32 v10, v10, v115
	v_fma_f32 v108, v108, v116, 1.0
	v_fmac_f32_e32 v117, 0x3284fbcf, v107
	v_cndmask_b32_e64 v10, v108, v10, s8
	v_cndmask_b32_e64 v108, 0, 0x411a209b, vcc_lo
	v_cmp_gt_f32_e64 vcc_lo, 0x7f800000, |v107|
	v_fmac_f32_e32 v117, 0x3e9a209a, v107
	v_xor3_b32 v1, v1, v109, v10
	v_cndmask_b32_e32 v106, v107, v117, vcc_lo
	v_cmp_class_f32_e64 vcc_lo, v0, 0x1f8
	v_mul_f32_e32 v1, 0x40490fdb, v1
	v_sub_f32_e32 v10, v106, v108
	v_cndmask_b32_e32 v0, 0x7fc00000, v105, vcc_lo
	v_cndmask_b32_e32 v1, 0x7fc00000, v1, vcc_lo
	v_add_f32_e32 v0, v10, v0
	v_mul_f32_e32 v105, v19, v0
	v_sub_f32_e32 v106, v0, v1
.LBB1_49:                               ;   in Loop: Header=BB1_29 Depth=1
	s_or_b32 exec_lo, exec_lo, s18
.LBB1_50:                               ;   in Loop: Header=BB1_29 Depth=1
	s_andn2_saveexec_b32 s15, s15
	s_cbranch_execz .LBB1_56
; %bb.51:                               ;   in Loop: Header=BB1_29 Depth=1
	v_mul_f32_e32 v0, v20, v104
                                        ; implicit-def: $vgpr10
                                        ; implicit-def: $vgpr1
	s_mov_b32 s9, exec_lo
	v_cmpx_ngt_f32_e64 0x48000000, |v0|
	s_xor_b32 s18, exec_lo, s9
	s_cbranch_execz .LBB1_53
; %bb.52:                               ;   in Loop: Header=BB1_29 Depth=1
	v_and_b32_e32 v1, 0x7fffffff, v0
	v_and_or_b32 v112, v1, s33, 0x800000
	v_lshrrev_b32_e32 v1, 23, v1
	v_mad_u64_u32 v[105:106], null, 0xfe5163ab, v112, 0
	v_add_nc_u32_e32 v1, 0xffffff88, v1
	v_cmp_lt_u32_e32 vcc_lo, 63, v1
	v_mov_b32_e32 v10, v106
	v_cndmask_b32_e64 v111, 0, 0xffffffc0, vcc_lo
	v_mad_u64_u32 v[106:107], null, 0x3c439041, v112, v[10:11]
	v_add_nc_u32_e32 v1, v111, v1
	v_mov_b32_e32 v10, v107
	v_cmp_lt_u32_e64 s8, 31, v1
	v_mad_u64_u32 v[107:108], null, 0xdb629599, v112, v[10:11]
	v_cndmask_b32_e64 v113, 0, 0xffffffe0, s8
	v_add_nc_u32_e32 v1, v113, v1
	v_mov_b32_e32 v10, v108
	v_cndmask_b32_e32 v105, v107, v105, vcc_lo
	v_cmp_lt_u32_e64 s9, 31, v1
	v_mad_u64_u32 v[108:109], null, 0xf534ddc0, v112, v[10:11]
	v_mov_b32_e32 v10, v109
	v_mad_u64_u32 v[109:110], null, 0xfc2757d1, v112, v[10:11]
	v_mov_b32_e32 v10, v110
	;; [unrolled: 2-line block ×3, first 2 shown]
	v_cndmask_b32_e32 v113, v110, v108, vcc_lo
	v_mad_u64_u32 v[111:112], null, 0xa2f9836e, v112, v[10:11]
	v_cndmask_b32_e64 v10, 0, 0xffffffe0, s9
	v_add_nc_u32_e32 v1, v10, v1
	v_cndmask_b32_e32 v111, v111, v109, vcc_lo
	v_cndmask_b32_e32 v110, v112, v110, vcc_lo
	v_cndmask_b32_e32 v109, v109, v107, vcc_lo
	v_cndmask_b32_e32 v10, v108, v106, vcc_lo
	v_cmp_eq_u32_e32 vcc_lo, 0, v1
	v_cndmask_b32_e64 v106, v111, v113, s8
	v_cndmask_b32_e64 v108, v110, v111, s8
	;; [unrolled: 1-line block ×3, first 2 shown]
	v_sub_nc_u32_e32 v111, 32, v1
	v_cndmask_b32_e64 v109, v109, v10, s8
	v_cndmask_b32_e64 v10, v10, v105, s8
	;; [unrolled: 1-line block ×6, first 2 shown]
	v_alignbit_b32 v112, v108, v106, v111
	v_alignbit_b32 v107, v106, v110, v111
	;; [unrolled: 1-line block ×3, first 2 shown]
	v_cndmask_b32_e32 v1, v112, v108, vcc_lo
	v_cndmask_b32_e32 v105, v107, v106, vcc_lo
	;; [unrolled: 1-line block ×3, first 2 shown]
	v_bfe_u32 v106, v1, 29, 1
	v_alignbit_b32 v107, v1, v105, 30
	v_alignbit_b32 v105, v105, v109, 30
	;; [unrolled: 1-line block ×3, first 2 shown]
	v_sub_nc_u32_e32 v108, 0, v106
	v_xor_b32_e32 v107, v107, v108
	v_xor_b32_e32 v105, v105, v108
	;; [unrolled: 1-line block ×3, first 2 shown]
	v_lshrrev_b32_e32 v108, 29, v1
	v_ffbh_u32_e32 v110, v107
	v_min_u32_e32 v110, 32, v110
	v_sub_nc_u32_e32 v109, 31, v110
	v_lshlrev_b32_e32 v111, 23, v110
	v_alignbit_b32 v107, v107, v105, v109
	v_alignbit_b32 v10, v105, v10, v109
	v_lshlrev_b32_e32 v105, 31, v108
	v_alignbit_b32 v108, v107, v10, 9
	v_or_b32_e32 v109, 0.5, v105
	v_lshrrev_b32_e32 v107, 9, v107
	v_or_b32_e32 v105, 0x33000000, v105
	v_ffbh_u32_e32 v112, v108
	v_sub_nc_u32_e32 v109, v109, v111
	v_min_u32_e32 v111, 32, v112
	v_or_b32_e32 v107, v107, v109
	v_not_b32_e32 v109, v111
	v_mul_f32_e32 v112, 0x3fc90fda, v107
	v_add_lshl_u32 v110, v111, v110, 23
	v_alignbit_b32 v10, v108, v10, v109
	v_fma_f32 v108, 0x3fc90fda, v107, -v112
	v_sub_nc_u32_e32 v105, v105, v110
	v_lshrrev_b32_e32 v10, 9, v10
	v_fmac_f32_e32 v108, 0x33a22168, v107
	v_or_b32_e32 v10, v105, v10
	v_fmac_f32_e32 v108, 0x3fc90fda, v10
	v_lshrrev_b32_e32 v10, 30, v1
	v_add_f32_e32 v1, v112, v108
	v_add_nc_u32_e32 v10, v106, v10
.LBB1_53:                               ;   in Loop: Header=BB1_29 Depth=1
	s_andn2_saveexec_b32 s8, s18
; %bb.54:                               ;   in Loop: Header=BB1_29 Depth=1
	v_mul_f32_e64 v1, 0x3f22f983, |v0|
	v_rndne_f32_e32 v10, v1
	v_fma_f32 v1, 0xbfc90fda, v10, |v0|
	v_fmac_f32_e32 v1, 0xb3a22168, v10
	v_fmac_f32_e32 v1, 0xa7c234c4, v10
	v_cvt_i32_f32_e32 v10, v10
; %bb.55:                               ;   in Loop: Header=BB1_29 Depth=1
	s_or_b32 exec_lo, exec_lo, s8
	v_mul_f32_e32 v105, v1, v1
	v_and_b32_e32 v108, 1, v10
	v_lshlrev_b32_e32 v10, 30, v10
	v_fmaak_f32 v106, s27, v105, 0x3c0881c4
	v_fmaak_f32 v107, s34, v105, 0xbab64f3b
	v_cmp_eq_u32_e32 vcc_lo, 0, v108
	v_and_b32_e32 v10, 0x80000000, v10
	v_fmaak_f32 v106, v105, v106, 0xbe2aaa9d
	v_fmaak_f32 v107, v105, v107, 0x3d2aabf7
	v_mul_f32_e32 v106, v105, v106
	v_fmaak_f32 v107, v105, v107, 0xbf000004
	v_fmac_f32_e32 v1, v1, v106
	v_fma_f32 v105, v105, v107, 1.0
	v_cndmask_b32_e64 v1, -v1, v105, vcc_lo
	v_cmp_class_f32_e64 vcc_lo, v0, 0x1f8
	v_xor_b32_e32 v1, v10, v1
	v_cndmask_b32_e32 v0, 0x7fc00000, v1, vcc_lo
	v_mul_f32_e32 v0, v104, v0
	v_div_scale_f32 v1, null, v0, v0, 1.0
	v_div_scale_f32 v106, vcc_lo, 1.0, v0, 1.0
	v_rcp_f32_e32 v10, v1
	v_fma_f32 v105, -v1, v10, 1.0
	v_fmac_f32_e32 v10, v105, v10
	v_mul_f32_e32 v105, v106, v10
	v_fma_f32 v107, -v1, v105, v106
	v_fmac_f32_e32 v105, v107, v10
	v_fma_f32 v1, -v1, v105, v106
	v_div_fmas_f32 v1, v1, v10, v105
	v_mov_b32_e32 v105, v19
	v_div_fixup_f32 v106, v1, v0, 1.0
.LBB1_56:                               ;   in Loop: Header=BB1_29 Depth=1
	s_or_b32 exec_lo, exec_lo, s15
                                        ; implicit-def: $vgpr0
.LBB1_57:                               ;   in Loop: Header=BB1_29 Depth=1
	s_andn2_saveexec_b32 s14, s14
	s_cbranch_execz .LBB1_83
; %bb.58:                               ;   in Loop: Header=BB1_29 Depth=1
                                        ; implicit-def: $vgpr106
                                        ; implicit-def: $vgpr105
	s_mov_b32 s8, exec_lo
	v_cmpx_lt_i32_e32 44, v0
	s_xor_b32 s15, exec_lo, s8
	s_cbranch_execz .LBB1_76
; %bb.59:                               ;   in Loop: Header=BB1_29 Depth=1
	global_load_dword v0, v[12:13], off
                                        ; implicit-def: $vgpr106
                                        ; implicit-def: $vgpr105
	s_waitcnt vmcnt(0)
	v_mul_f32_e32 v0, v20, v0
	v_mul_f32_e32 v0, v104, v0
	v_and_b32_e32 v1, 0x7fffffff, v0
	v_cmp_ngt_f32_e64 s18, 0x48000000, |v0|
	v_lshrrev_b32_e32 v10, 23, v1
	v_and_or_b32 v107, v1, s33, 0x800000
	v_add_nc_u32_e32 v108, 0xffffff88, v10
	s_and_saveexec_b32 s8, s18
	s_xor_b32 s19, exec_lo, s8
	s_cbranch_execz .LBB1_61
; %bb.60:                               ;   in Loop: Header=BB1_29 Depth=1
	v_mad_u64_u32 v[105:106], null, 0xfe5163ab, v107, 0
	v_cmp_lt_u32_e32 vcc_lo, 63, v108
	v_mov_b32_e32 v10, v106
	v_cndmask_b32_e64 v106, 0, 0xffffffc0, vcc_lo
	v_mad_u64_u32 v[109:110], null, 0x3c439041, v107, v[10:11]
	v_add_nc_u32_e32 v106, v106, v108
	v_cmp_lt_u32_e64 s8, 31, v106
	v_mov_b32_e32 v10, v110
	v_cndmask_b32_e64 v115, 0, 0xffffffe0, s8
	v_mad_u64_u32 v[110:111], null, 0xdb629599, v107, v[10:11]
	v_add_nc_u32_e32 v106, v115, v106
	v_mov_b32_e32 v10, v111
	v_cmp_lt_u32_e64 s9, 31, v106
	v_cndmask_b32_e32 v105, v110, v105, vcc_lo
	v_mad_u64_u32 v[111:112], null, 0xf534ddc0, v107, v[10:11]
	v_mov_b32_e32 v10, v112
	v_mad_u64_u32 v[112:113], null, 0xfc2757d1, v107, v[10:11]
	v_mov_b32_e32 v10, v113
	;; [unrolled: 2-line block ×3, first 2 shown]
	v_cndmask_b32_e32 v116, v113, v111, vcc_lo
	v_mad_u64_u32 v[114:115], null, 0xa2f9836e, v107, v[10:11]
	v_cndmask_b32_e64 v10, 0, 0xffffffe0, s9
	v_add_nc_u32_e32 v10, v10, v106
	v_cndmask_b32_e32 v114, v114, v112, vcc_lo
	v_cndmask_b32_e32 v113, v115, v113, vcc_lo
	;; [unrolled: 1-line block ×4, first 2 shown]
	v_cmp_eq_u32_e32 vcc_lo, 0, v10
	v_cndmask_b32_e64 v109, v114, v116, s8
	v_cndmask_b32_e64 v111, v113, v114, s8
	;; [unrolled: 1-line block ×3, first 2 shown]
	v_sub_nc_u32_e32 v114, 32, v10
	v_cndmask_b32_e64 v112, v112, v106, s8
	v_cndmask_b32_e64 v105, v106, v105, s8
	;; [unrolled: 1-line block ×6, first 2 shown]
	v_alignbit_b32 v115, v111, v109, v114
	v_alignbit_b32 v110, v109, v113, v114
	;; [unrolled: 1-line block ×3, first 2 shown]
	v_cndmask_b32_e32 v10, v115, v111, vcc_lo
	v_cndmask_b32_e32 v106, v110, v109, vcc_lo
	;; [unrolled: 1-line block ×3, first 2 shown]
	v_bfe_u32 v109, v10, 29, 1
	v_alignbit_b32 v110, v10, v106, 30
	v_alignbit_b32 v106, v106, v112, 30
	;; [unrolled: 1-line block ×3, first 2 shown]
	v_sub_nc_u32_e32 v111, 0, v109
	v_xor_b32_e32 v110, v110, v111
	v_xor_b32_e32 v106, v106, v111
	;; [unrolled: 1-line block ×3, first 2 shown]
	v_lshrrev_b32_e32 v111, 29, v10
	v_lshrrev_b32_e32 v10, 30, v10
	v_ffbh_u32_e32 v113, v110
	v_min_u32_e32 v113, 32, v113
	v_sub_nc_u32_e32 v112, 31, v113
	v_lshlrev_b32_e32 v114, 23, v113
	v_alignbit_b32 v110, v110, v106, v112
	v_alignbit_b32 v105, v106, v105, v112
	v_lshlrev_b32_e32 v106, 31, v111
	v_alignbit_b32 v111, v110, v105, 9
	v_or_b32_e32 v112, 0.5, v106
	v_lshrrev_b32_e32 v110, 9, v110
	v_or_b32_e32 v106, 0x33000000, v106
	v_ffbh_u32_e32 v115, v111
	v_sub_nc_u32_e32 v112, v112, v114
	v_min_u32_e32 v114, 32, v115
	v_or_b32_e32 v110, v110, v112
	v_not_b32_e32 v112, v114
	v_mul_f32_e32 v115, 0x3fc90fda, v110
	v_add_lshl_u32 v113, v114, v113, 23
	v_alignbit_b32 v105, v111, v105, v112
	v_fma_f32 v111, 0x3fc90fda, v110, -v115
	v_sub_nc_u32_e32 v106, v106, v113
	v_lshrrev_b32_e32 v105, 9, v105
	v_fmac_f32_e32 v111, 0x33a22168, v110
	v_or_b32_e32 v105, v106, v105
	v_add_nc_u32_e32 v106, v109, v10
	v_fmac_f32_e32 v111, 0x3fc90fda, v105
	v_add_f32_e32 v105, v115, v111
.LBB1_61:                               ;   in Loop: Header=BB1_29 Depth=1
	s_or_saveexec_b32 s8, s19
	v_mul_f32_e64 v10, 0x3f22f983, |v0|
	v_rndne_f32_e32 v111, v10
	s_xor_b32 exec_lo, exec_lo, s8
; %bb.62:                               ;   in Loop: Header=BB1_29 Depth=1
	v_fma_f32 v105, 0xbfc90fda, v111, |v0|
	v_cvt_i32_f32_e32 v106, v111
	v_fmac_f32_e32 v105, 0xb3a22168, v111
	v_fmac_f32_e32 v105, 0xa7c234c4, v111
; %bb.63:                               ;   in Loop: Header=BB1_29 Depth=1
	s_or_b32 exec_lo, exec_lo, s8
                                        ; implicit-def: $vgpr110
                                        ; implicit-def: $vgpr109
	s_and_saveexec_b32 s8, s18
	s_xor_b32 s19, exec_lo, s8
	s_cbranch_execz .LBB1_65
; %bb.64:                               ;   in Loop: Header=BB1_29 Depth=1
	v_mad_u64_u32 v[109:110], null, 0xfe5163ab, v107, 0
	v_cmp_lt_u32_e32 vcc_lo, 63, v108
	v_mov_b32_e32 v10, v110
	v_cndmask_b32_e64 v110, 0, 0xffffffc0, vcc_lo
	v_mad_u64_u32 v[112:113], null, 0x3c439041, v107, v[10:11]
	v_add_nc_u32_e32 v110, v110, v108
	v_cmp_lt_u32_e64 s8, 31, v110
	v_mov_b32_e32 v10, v113
	v_cndmask_b32_e64 v118, 0, 0xffffffe0, s8
	v_mad_u64_u32 v[113:114], null, 0xdb629599, v107, v[10:11]
	v_add_nc_u32_e32 v110, v118, v110
	v_mov_b32_e32 v10, v114
	v_cmp_lt_u32_e64 s9, 31, v110
	v_cndmask_b32_e32 v109, v113, v109, vcc_lo
	v_mad_u64_u32 v[114:115], null, 0xf534ddc0, v107, v[10:11]
	v_mov_b32_e32 v10, v115
	v_mad_u64_u32 v[115:116], null, 0xfc2757d1, v107, v[10:11]
	v_mov_b32_e32 v10, v116
	;; [unrolled: 2-line block ×3, first 2 shown]
	v_cndmask_b32_e32 v119, v116, v114, vcc_lo
	v_mad_u64_u32 v[117:118], null, 0xa2f9836e, v107, v[10:11]
	v_cndmask_b32_e64 v10, 0, 0xffffffe0, s9
	v_add_nc_u32_e32 v10, v10, v110
	v_cndmask_b32_e32 v117, v117, v115, vcc_lo
	v_cndmask_b32_e32 v116, v118, v116, vcc_lo
	;; [unrolled: 1-line block ×4, first 2 shown]
	v_cmp_eq_u32_e32 vcc_lo, 0, v10
	v_cndmask_b32_e64 v112, v117, v119, s8
	v_cndmask_b32_e64 v114, v116, v117, s8
	;; [unrolled: 1-line block ×3, first 2 shown]
	v_sub_nc_u32_e32 v117, 32, v10
	v_cndmask_b32_e64 v115, v115, v110, s8
	v_cndmask_b32_e64 v109, v110, v109, s8
	;; [unrolled: 1-line block ×6, first 2 shown]
	v_alignbit_b32 v118, v114, v112, v117
	v_alignbit_b32 v113, v112, v116, v117
	;; [unrolled: 1-line block ×3, first 2 shown]
	v_cndmask_b32_e32 v10, v118, v114, vcc_lo
	v_cndmask_b32_e32 v110, v113, v112, vcc_lo
	;; [unrolled: 1-line block ×3, first 2 shown]
	v_bfe_u32 v112, v10, 29, 1
	v_alignbit_b32 v113, v10, v110, 30
	v_alignbit_b32 v110, v110, v115, 30
	;; [unrolled: 1-line block ×3, first 2 shown]
	v_sub_nc_u32_e32 v114, 0, v112
	v_xor_b32_e32 v113, v113, v114
	v_xor_b32_e32 v110, v110, v114
	;; [unrolled: 1-line block ×3, first 2 shown]
	v_lshrrev_b32_e32 v114, 29, v10
	v_lshrrev_b32_e32 v10, 30, v10
	v_ffbh_u32_e32 v116, v113
	v_min_u32_e32 v116, 32, v116
	v_sub_nc_u32_e32 v115, 31, v116
	v_lshlrev_b32_e32 v117, 23, v116
	v_alignbit_b32 v113, v113, v110, v115
	v_alignbit_b32 v109, v110, v109, v115
	v_lshlrev_b32_e32 v110, 31, v114
	v_alignbit_b32 v114, v113, v109, 9
	v_or_b32_e32 v115, 0.5, v110
	v_lshrrev_b32_e32 v113, 9, v113
	v_or_b32_e32 v110, 0x33000000, v110
	v_ffbh_u32_e32 v118, v114
	v_sub_nc_u32_e32 v115, v115, v117
	v_min_u32_e32 v117, 32, v118
	v_or_b32_e32 v113, v113, v115
	v_not_b32_e32 v115, v117
	v_mul_f32_e32 v118, 0x3fc90fda, v113
	v_add_lshl_u32 v116, v117, v116, 23
	v_alignbit_b32 v109, v114, v109, v115
	v_fma_f32 v114, 0x3fc90fda, v113, -v118
	v_sub_nc_u32_e32 v110, v110, v116
	v_lshrrev_b32_e32 v109, 9, v109
	v_fmac_f32_e32 v114, 0x33a22168, v113
	v_or_b32_e32 v109, v110, v109
	v_add_nc_u32_e32 v110, v112, v10
	v_fmac_f32_e32 v114, 0x3fc90fda, v109
	v_add_f32_e32 v109, v118, v114
	s_andn2_saveexec_b32 s8, s19
	s_branch .LBB1_66
.LBB1_65:                               ;   in Loop: Header=BB1_29 Depth=1
	s_andn2_saveexec_b32 s8, s19
.LBB1_66:                               ;   in Loop: Header=BB1_29 Depth=1
	v_fma_f32 v109, 0xbfc90fda, v111, |v0|
	v_cvt_i32_f32_e32 v110, v111
	v_fmac_f32_e32 v109, 0xb3a22168, v111
	v_fmac_f32_e32 v109, 0xa7c234c4, v111
; %bb.67:                               ;   in Loop: Header=BB1_29 Depth=1
	s_or_b32 exec_lo, exec_lo, s8
                                        ; implicit-def: $vgpr113
                                        ; implicit-def: $vgpr112
	s_and_saveexec_b32 s8, s18
	s_xor_b32 s19, exec_lo, s8
	s_cbranch_execz .LBB1_69
; %bb.68:                               ;   in Loop: Header=BB1_29 Depth=1
	v_mad_u64_u32 v[112:113], null, 0xfe5163ab, v107, 0
	v_cmp_lt_u32_e32 vcc_lo, 63, v108
	v_cndmask_b32_e64 v118, 0, 0xffffffc0, vcc_lo
	v_mov_b32_e32 v10, v113
	v_add_nc_u32_e32 v119, v118, v108
	v_mad_u64_u32 v[113:114], null, 0x3c439041, v107, v[10:11]
	v_cmp_lt_u32_e64 s8, 31, v119
	v_mov_b32_e32 v10, v114
	v_cndmask_b32_e64 v120, 0, 0xffffffe0, s8
	v_mad_u64_u32 v[114:115], null, 0xdb629599, v107, v[10:11]
	v_add_nc_u32_e32 v120, v120, v119
	v_cmp_lt_u32_e64 s9, 31, v120
	v_mov_b32_e32 v10, v115
	v_cndmask_b32_e32 v112, v114, v112, vcc_lo
	v_mad_u64_u32 v[115:116], null, 0xf534ddc0, v107, v[10:11]
	v_mov_b32_e32 v10, v116
	v_cndmask_b32_e32 v113, v115, v113, vcc_lo
	v_mad_u64_u32 v[116:117], null, 0xfc2757d1, v107, v[10:11]
	v_cndmask_b32_e64 v112, v113, v112, s8
	v_mov_b32_e32 v10, v117
	v_mad_u64_u32 v[117:118], null, 0x4e441529, v107, v[10:11]
	v_mov_b32_e32 v10, v118
	v_cndmask_b32_e32 v121, v117, v115, vcc_lo
	v_mad_u64_u32 v[118:119], null, 0xa2f9836e, v107, v[10:11]
	v_cndmask_b32_e64 v10, 0, 0xffffffe0, s9
	v_add_nc_u32_e32 v10, v10, v120
	v_cndmask_b32_e32 v118, v118, v116, vcc_lo
	v_cndmask_b32_e32 v117, v119, v117, vcc_lo
	;; [unrolled: 1-line block ×3, first 2 shown]
	v_sub_nc_u32_e32 v119, 32, v10
	v_cndmask_b32_e64 v115, v118, v121, s8
	v_cndmask_b32_e64 v117, v117, v118, s8
	;; [unrolled: 1-line block ×4, first 2 shown]
	v_cmp_eq_u32_e32 vcc_lo, 0, v10
	v_cndmask_b32_e64 v117, v117, v115, s9
	v_cndmask_b32_e64 v115, v115, v118, s9
	v_cndmask_b32_e64 v118, v118, v116, s9
	v_cndmask_b32_e64 v112, v116, v112, s9
	v_alignbit_b32 v120, v117, v115, v119
	v_alignbit_b32 v114, v115, v118, v119
	v_cndmask_b32_e32 v10, v120, v117, vcc_lo
	v_cndmask_b32_e32 v113, v114, v115, vcc_lo
	v_alignbit_b32 v117, v118, v112, v119
	v_bfe_u32 v114, v10, 29, 1
	v_alignbit_b32 v115, v10, v113, 30
	v_cndmask_b32_e32 v117, v117, v118, vcc_lo
	v_sub_nc_u32_e32 v116, 0, v114
	v_alignbit_b32 v113, v113, v117, 30
	v_alignbit_b32 v112, v117, v112, 30
	v_xor_b32_e32 v115, v115, v116
	v_xor_b32_e32 v113, v113, v116
	;; [unrolled: 1-line block ×3, first 2 shown]
	v_lshrrev_b32_e32 v116, 29, v10
	v_ffbh_u32_e32 v118, v115
	v_lshrrev_b32_e32 v10, 30, v10
	v_min_u32_e32 v118, 32, v118
	v_sub_nc_u32_e32 v117, 31, v118
	v_lshlrev_b32_e32 v119, 23, v118
	v_alignbit_b32 v115, v115, v113, v117
	v_alignbit_b32 v112, v113, v112, v117
	v_lshlrev_b32_e32 v113, 31, v116
	v_alignbit_b32 v116, v115, v112, 9
	v_or_b32_e32 v117, 0.5, v113
	v_lshrrev_b32_e32 v115, 9, v115
	v_or_b32_e32 v113, 0x33000000, v113
	v_ffbh_u32_e32 v120, v116
	v_sub_nc_u32_e32 v117, v117, v119
	v_min_u32_e32 v119, 32, v120
	v_or_b32_e32 v115, v115, v117
	v_not_b32_e32 v117, v119
	v_mul_f32_e32 v120, 0x3fc90fda, v115
	v_add_lshl_u32 v118, v119, v118, 23
	v_alignbit_b32 v112, v116, v112, v117
	v_fma_f32 v116, 0x3fc90fda, v115, -v120
	v_sub_nc_u32_e32 v113, v113, v118
	v_lshrrev_b32_e32 v112, 9, v112
	v_fmac_f32_e32 v116, 0x33a22168, v115
	v_or_b32_e32 v112, v113, v112
	v_add_nc_u32_e32 v113, v114, v10
	v_fmac_f32_e32 v116, 0x3fc90fda, v112
	v_add_f32_e32 v112, v120, v116
	s_andn2_saveexec_b32 s8, s19
	s_branch .LBB1_70
.LBB1_69:                               ;   in Loop: Header=BB1_29 Depth=1
	s_andn2_saveexec_b32 s8, s19
.LBB1_70:                               ;   in Loop: Header=BB1_29 Depth=1
	v_fma_f32 v112, 0xbfc90fda, v111, |v0|
	v_cvt_i32_f32_e32 v113, v111
	v_fmac_f32_e32 v112, 0xb3a22168, v111
	v_fmac_f32_e32 v112, 0xa7c234c4, v111
; %bb.71:                               ;   in Loop: Header=BB1_29 Depth=1
	s_or_b32 exec_lo, exec_lo, s8
                                        ; implicit-def: $vgpr114
                                        ; implicit-def: $vgpr10
	s_and_saveexec_b32 s8, s18
	s_xor_b32 s18, exec_lo, s8
	s_cbranch_execz .LBB1_73
; %bb.72:                               ;   in Loop: Header=BB1_29 Depth=1
	v_mad_u64_u32 v[114:115], null, 0xfe5163ab, v107, 0
	v_cmp_lt_u32_e32 vcc_lo, 63, v108
	v_cndmask_b32_e64 v111, 0, 0xffffffc0, vcc_lo
	v_mov_b32_e32 v10, v115
	v_add_nc_u32_e32 v108, v111, v108
	v_mad_u64_u32 v[115:116], null, 0x3c439041, v107, v[10:11]
	v_cmp_lt_u32_e64 s8, 31, v108
	v_mov_b32_e32 v10, v116
	v_cndmask_b32_e64 v111, 0, 0xffffffe0, s8
	v_mad_u64_u32 v[116:117], null, 0xdb629599, v107, v[10:11]
	v_add_nc_u32_e32 v111, v111, v108
	v_cmp_lt_u32_e64 s9, 31, v111
	v_mov_b32_e32 v10, v117
	v_cndmask_b32_e32 v114, v116, v114, vcc_lo
	v_mad_u64_u32 v[117:118], null, 0xf534ddc0, v107, v[10:11]
	v_mov_b32_e32 v10, v118
	v_mad_u64_u32 v[118:119], null, 0xfc2757d1, v107, v[10:11]
	v_mov_b32_e32 v10, v119
	;; [unrolled: 2-line block ×3, first 2 shown]
	v_cndmask_b32_e32 v120, v119, v117, vcc_lo
	v_mad_u64_u32 v[107:108], null, 0xa2f9836e, v107, v[10:11]
	v_cndmask_b32_e64 v10, 0, 0xffffffe0, s9
	v_add_nc_u32_e32 v10, v10, v111
	v_cndmask_b32_e32 v107, v107, v118, vcc_lo
	v_cndmask_b32_e32 v108, v108, v119, vcc_lo
	;; [unrolled: 1-line block ×4, first 2 shown]
	v_sub_nc_u32_e32 v117, 32, v10
	v_cndmask_b32_e64 v115, v107, v120, s8
	v_cndmask_b32_e64 v107, v108, v107, s8
	;; [unrolled: 1-line block ×4, first 2 shown]
	v_cmp_eq_u32_e32 vcc_lo, 0, v10
	v_cndmask_b32_e64 v107, v107, v115, s9
	v_cndmask_b32_e64 v115, v115, v108, s9
	;; [unrolled: 1-line block ×3, first 2 shown]
	v_alignbit_b32 v119, v107, v115, v117
	v_alignbit_b32 v116, v115, v108, v117
	v_cndmask_b32_e32 v10, v119, v107, vcc_lo
	v_cndmask_b32_e64 v107, v111, v114, s8
	v_cndmask_b32_e32 v111, v116, v115, vcc_lo
	v_bfe_u32 v114, v10, 29, 1
	v_cndmask_b32_e64 v107, v118, v107, s9
	v_alignbit_b32 v115, v10, v111, 30
	v_sub_nc_u32_e32 v116, 0, v114
	v_alignbit_b32 v117, v108, v107, v117
	v_xor_b32_e32 v115, v115, v116
	v_cndmask_b32_e32 v108, v117, v108, vcc_lo
	v_ffbh_u32_e32 v117, v115
	v_alignbit_b32 v111, v111, v108, 30
	v_alignbit_b32 v107, v108, v107, 30
	v_min_u32_e32 v117, 32, v117
	v_xor_b32_e32 v108, v111, v116
	v_xor_b32_e32 v107, v107, v116
	v_lshrrev_b32_e32 v116, 29, v10
	v_sub_nc_u32_e32 v111, 31, v117
	v_lshlrev_b32_e32 v118, 23, v117
	v_alignbit_b32 v115, v115, v108, v111
	v_alignbit_b32 v107, v108, v107, v111
	v_lshlrev_b32_e32 v108, 31, v116
	v_alignbit_b32 v111, v115, v107, 9
	v_or_b32_e32 v116, 0.5, v108
	v_lshrrev_b32_e32 v115, 9, v115
	v_or_b32_e32 v108, 0x33000000, v108
	v_ffbh_u32_e32 v119, v111
	v_sub_nc_u32_e32 v116, v116, v118
	v_min_u32_e32 v118, 32, v119
	v_or_b32_e32 v115, v115, v116
	v_not_b32_e32 v116, v118
	v_mul_f32_e32 v119, 0x3fc90fda, v115
	v_add_lshl_u32 v117, v118, v117, 23
	v_alignbit_b32 v107, v111, v107, v116
	v_fma_f32 v111, 0x3fc90fda, v115, -v119
	v_sub_nc_u32_e32 v108, v108, v117
	v_lshrrev_b32_e32 v107, 9, v107
	v_fmac_f32_e32 v111, 0x33a22168, v115
	v_or_b32_e32 v107, v108, v107
	v_fmac_f32_e32 v111, 0x3fc90fda, v107
	v_lshrrev_b32_e32 v107, 30, v10
	v_add_f32_e32 v10, v119, v111
	v_add_nc_u32_e32 v114, v114, v107
                                        ; implicit-def: $vgpr111
	s_andn2_saveexec_b32 s8, s18
	s_cbranch_execnz .LBB1_74
	s_branch .LBB1_75
.LBB1_73:                               ;   in Loop: Header=BB1_29 Depth=1
	s_andn2_saveexec_b32 s8, s18
.LBB1_74:                               ;   in Loop: Header=BB1_29 Depth=1
	v_fma_f32 v10, 0xbfc90fda, v111, |v0|
	v_cvt_i32_f32_e32 v114, v111
	v_fmac_f32_e32 v10, 0xb3a22168, v111
	v_fmac_f32_e32 v10, 0xa7c234c4, v111
.LBB1_75:                               ;   in Loop: Header=BB1_29 Depth=1
	s_or_b32 exec_lo, exec_lo, s8
	v_mul_f32_e32 v107, v112, v112
	v_mul_f32_e32 v111, v105, v105
	v_and_b32_e32 v108, 1, v113
	v_and_b32_e32 v117, 1, v106
	v_mul_f32_e32 v120, v109, v109
	v_fmaak_f32 v115, s27, v107, 0x3c0881c4
	v_fmaak_f32 v116, s34, v107, 0xbab64f3b
	;; [unrolled: 1-line block ×4, first 2 shown]
	v_cmp_eq_u32_e32 vcc_lo, 0, v108
	v_fmaak_f32 v115, v107, v115, 0xbe2aaa9d
	v_fmaak_f32 v116, v107, v116, 0x3d2aabf7
	;; [unrolled: 1-line block ×5, first 2 shown]
	v_mul_f32_e32 v115, v107, v115
	v_fmaak_f32 v116, v107, v116, 0xbf000004
	v_mul_f32_e32 v118, v111, v118
	v_fmaak_f32 v119, v111, v119, 0xbf000004
	v_fmaak_f32 v108, v120, v108, 0x3d2aabf7
	v_fmac_f32_e32 v112, v112, v115
	v_fma_f32 v107, v107, v116, 1.0
	v_fmaak_f32 v115, s27, v120, 0x3c0881c4
	v_fmac_f32_e32 v105, v105, v118
	v_fma_f32 v111, v111, v119, 1.0
	v_fmaak_f32 v108, v120, v108, 0xbf000004
	v_cndmask_b32_e64 v107, -v112, v107, vcc_lo
	v_cmp_eq_u32_e32 vcc_lo, 0, v117
	v_mul_f32_e32 v112, v10, v10
	v_lshlrev_b32_e32 v117, 30, v114
	v_fma_f32 v108, v120, v108, 1.0
	v_and_b32_e32 v114, 1, v114
	v_cndmask_b32_e64 v105, -v105, v111, vcc_lo
	v_fmaak_f32 v111, v120, v115, 0xbe2aaa9d
	v_fmaak_f32 v115, s27, v112, 0x3c0881c4
	;; [unrolled: 1-line block ×3, first 2 shown]
	v_lshlrev_b32_e32 v113, 30, v113
	v_lshlrev_b32_e32 v106, 30, v106
	v_mul_f32_e32 v111, v120, v111
	v_fmaak_f32 v115, v112, v115, 0xbe2aaa9d
	v_fmaak_f32 v116, v112, v116, 0x3d2aabf7
	v_and_b32_e32 v113, 0x80000000, v113
	v_and_b32_e32 v106, 0x80000000, v106
	v_fmac_f32_e32 v109, v109, v111
	v_lshlrev_b32_e32 v111, 30, v110
	v_and_b32_e32 v110, 1, v110
	v_mul_f32_e32 v115, v112, v115
	v_fmaak_f32 v116, v112, v116, 0xbf000004
	v_xor_b32_e32 v107, v113, v107
	v_and_b32_e32 v111, 0x80000000, v111
	v_cmp_eq_u32_e32 vcc_lo, 0, v110
	v_fmac_f32_e32 v10, v10, v115
	v_fma_f32 v112, v112, v116, 1.0
	v_and_b32_e32 v115, 0x80000000, v117
	v_xor_b32_e32 v105, v106, v105
	v_cndmask_b32_e32 v108, v108, v109, vcc_lo
	v_cmp_eq_u32_e32 vcc_lo, 0, v114
	v_xor_b32_e32 v109, v1, v111
	v_xor_b32_e32 v1, v1, v115
	v_cndmask_b32_e32 v10, v112, v10, vcc_lo
	v_xor3_b32 v106, v109, v108, v0
	v_cmp_class_f32_e64 vcc_lo, v0, 0x1f8
	v_xor3_b32 v1, v1, v10, v0
	v_add_f32_e32 v10, v105, v106
	v_sub_f32_e32 v1, v107, v1
	v_cndmask_b32_e32 v0, 0x7fc00000, v10, vcc_lo
	v_cndmask_b32_e32 v1, 0x7fc00000, v1, vcc_lo
	v_mul_f32_e32 v105, v19, v0
	v_mul_f32_e32 v106, v19, v1
.LBB1_76:                               ;   in Loop: Header=BB1_29 Depth=1
	s_andn2_saveexec_b32 s15, s15
	s_cbranch_execz .LBB1_82
; %bb.77:                               ;   in Loop: Header=BB1_29 Depth=1
	global_load_dword v0, v[12:13], off
                                        ; implicit-def: $vgpr105
                                        ; implicit-def: $vgpr10
	s_mov_b32 s9, exec_lo
	s_waitcnt vmcnt(0)
	v_mul_f32_e32 v0, 0x40490fdb, v0
	v_mul_f32_e32 v0, v104, v0
	v_and_b32_e32 v1, 0x7fffffff, v0
	v_cmpx_ngt_f32_e64 0x48000000, |v0|
	s_xor_b32 s18, exec_lo, s9
	s_cbranch_execz .LBB1_79
; %bb.78:                               ;   in Loop: Header=BB1_29 Depth=1
	v_and_or_b32 v112, v1, s33, 0x800000
	v_lshrrev_b32_e32 v110, 23, v1
	v_mad_u64_u32 v[105:106], null, 0xfe5163ab, v112, 0
	v_add_nc_u32_e32 v111, 0xffffff88, v110
	v_cmp_lt_u32_e32 vcc_lo, 63, v111
	v_mov_b32_e32 v10, v106
	v_cndmask_b32_e64 v113, 0, 0xffffffc0, vcc_lo
	v_mad_u64_u32 v[106:107], null, 0x3c439041, v112, v[10:11]
	v_add_nc_u32_e32 v113, v113, v111
	v_mov_b32_e32 v10, v107
	v_cmp_lt_u32_e64 s8, 31, v113
	v_mad_u64_u32 v[107:108], null, 0xdb629599, v112, v[10:11]
	v_cndmask_b32_e64 v114, 0, 0xffffffe0, s8
	v_add_nc_u32_e32 v113, v114, v113
	v_mov_b32_e32 v10, v108
	v_cndmask_b32_e32 v105, v107, v105, vcc_lo
	v_cmp_lt_u32_e64 s9, 31, v113
	v_mad_u64_u32 v[108:109], null, 0xf534ddc0, v112, v[10:11]
	v_mov_b32_e32 v10, v109
	v_cndmask_b32_e32 v106, v108, v106, vcc_lo
	v_mad_u64_u32 v[109:110], null, 0xfc2757d1, v112, v[10:11]
	v_cndmask_b32_e64 v105, v106, v105, s8
	v_mov_b32_e32 v10, v110
	v_mad_u64_u32 v[110:111], null, 0x4e441529, v112, v[10:11]
	v_mov_b32_e32 v10, v111
	v_cndmask_b32_e32 v114, v110, v108, vcc_lo
	v_mad_u64_u32 v[111:112], null, 0xa2f9836e, v112, v[10:11]
	v_cndmask_b32_e64 v10, 0, 0xffffffe0, s9
	v_add_nc_u32_e32 v10, v10, v113
	v_cndmask_b32_e32 v111, v111, v109, vcc_lo
	v_cndmask_b32_e32 v110, v112, v110, vcc_lo
	;; [unrolled: 1-line block ×3, first 2 shown]
	v_sub_nc_u32_e32 v112, 32, v10
	v_cndmask_b32_e64 v108, v111, v114, s8
	v_cndmask_b32_e64 v110, v110, v111, s8
	;; [unrolled: 1-line block ×4, first 2 shown]
	v_cmp_eq_u32_e32 vcc_lo, 0, v10
	v_cndmask_b32_e64 v110, v110, v108, s9
	v_cndmask_b32_e64 v108, v108, v111, s9
	;; [unrolled: 1-line block ×4, first 2 shown]
	v_alignbit_b32 v113, v110, v108, v112
	v_alignbit_b32 v107, v108, v111, v112
	v_cndmask_b32_e32 v10, v113, v110, vcc_lo
	v_cndmask_b32_e32 v106, v107, v108, vcc_lo
	v_alignbit_b32 v110, v111, v105, v112
	v_bfe_u32 v107, v10, 29, 1
	v_alignbit_b32 v108, v10, v106, 30
	v_cndmask_b32_e32 v110, v110, v111, vcc_lo
	v_sub_nc_u32_e32 v109, 0, v107
	v_alignbit_b32 v106, v106, v110, 30
	v_alignbit_b32 v105, v110, v105, 30
	v_xor_b32_e32 v108, v108, v109
	v_xor_b32_e32 v106, v106, v109
	v_xor_b32_e32 v105, v105, v109
	v_lshrrev_b32_e32 v109, 29, v10
	v_ffbh_u32_e32 v111, v108
	v_min_u32_e32 v111, 32, v111
	v_sub_nc_u32_e32 v110, 31, v111
	v_lshlrev_b32_e32 v112, 23, v111
	v_alignbit_b32 v108, v108, v106, v110
	v_alignbit_b32 v105, v106, v105, v110
	v_lshlrev_b32_e32 v106, 31, v109
	v_alignbit_b32 v109, v108, v105, 9
	v_or_b32_e32 v110, 0.5, v106
	v_lshrrev_b32_e32 v108, 9, v108
	v_or_b32_e32 v106, 0x33000000, v106
	v_ffbh_u32_e32 v113, v109
	v_sub_nc_u32_e32 v110, v110, v112
	v_min_u32_e32 v112, 32, v113
	v_or_b32_e32 v108, v108, v110
	v_not_b32_e32 v110, v112
	v_mul_f32_e32 v113, 0x3fc90fda, v108
	v_add_lshl_u32 v111, v112, v111, 23
	v_alignbit_b32 v105, v109, v105, v110
	v_fma_f32 v109, 0x3fc90fda, v108, -v113
	v_sub_nc_u32_e32 v106, v106, v111
	v_lshrrev_b32_e32 v105, 9, v105
	v_fmac_f32_e32 v109, 0x33a22168, v108
	v_or_b32_e32 v105, v106, v105
	v_fmac_f32_e32 v109, 0x3fc90fda, v105
	v_lshrrev_b32_e32 v105, 30, v10
	v_add_f32_e32 v10, v113, v109
	v_add_nc_u32_e32 v105, v107, v105
.LBB1_79:                               ;   in Loop: Header=BB1_29 Depth=1
	s_andn2_saveexec_b32 s8, s18
; %bb.80:                               ;   in Loop: Header=BB1_29 Depth=1
	v_mul_f32_e64 v10, 0x3f22f983, |v0|
	v_rndne_f32_e32 v105, v10
	v_fma_f32 v10, 0xbfc90fda, v105, |v0|
	v_fmac_f32_e32 v10, 0xb3a22168, v105
	v_fmac_f32_e32 v10, 0xa7c234c4, v105
	v_cvt_i32_f32_e32 v105, v105
; %bb.81:                               ;   in Loop: Header=BB1_29 Depth=1
	s_or_b32 exec_lo, exec_lo, s8
	v_mul_f32_e32 v106, v10, v10
	v_and_b32_e32 v105, 1, v105
	v_fmaak_f32 v107, s36, v106, 0xbf039337
	v_fmaak_f32 v108, s35, v106, 0x3ec54587
	v_cmp_eq_u32_e32 vcc_lo, 0, v105
	v_fmaak_f32 v107, v106, v107, 0x3f93f425
	v_rcp_f32_e32 v107, v107
	v_mul_f32_e32 v107, v108, v107
	v_mul_f32_e32 v106, v106, v107
	v_fma_f32 v107, v106, v10, v10
	v_rcp_f32_e32 v108, v107
	v_sub_f32_e32 v109, v107, v10
	v_fma_f32 v10, v106, v10, -v109
	v_fma_f32 v106, v107, -v108, 1.0
	v_fma_f32 v10, v10, -v108, v106
	v_fma_f32 v10, v10, -v108, -v108
	v_cndmask_b32_e32 v10, v10, v107, vcc_lo
	v_cmp_class_f32_e64 vcc_lo, v0, 0x1f8
	v_xor3_b32 v1, v1, v0, v10
	v_cndmask_b32_e32 v0, 0x7fc00000, v1, vcc_lo
	v_mul_f32_e32 v0, v104, v0
	v_div_scale_f32 v1, null, v26, v26, v0
	v_div_scale_f32 v106, vcc_lo, v0, v26, v0
	v_rcp_f32_e32 v10, v1
	v_fma_f32 v105, -v1, v10, 1.0
	v_fmac_f32_e32 v10, v105, v10
	v_mul_f32_e32 v105, v106, v10
	v_fma_f32 v107, -v1, v105, v106
	v_fmac_f32_e32 v105, v107, v10
	v_fma_f32 v1, -v1, v105, v106
	v_div_fmas_f32 v1, v1, v10, v105
	v_div_fixup_f32 v0, v1, v26, v0
	v_mul_f32_e32 v105, v45, v0
	v_mul_f32_e32 v106, v46, v0
.LBB1_82:                               ;   in Loop: Header=BB1_29 Depth=1
	s_or_b32 exec_lo, exec_lo, s15
.LBB1_83:                               ;   in Loop: Header=BB1_29 Depth=1
	s_or_b32 exec_lo, exec_lo, s14
                                        ; implicit-def: $vgpr0
.LBB1_84:                               ;   in Loop: Header=BB1_29 Depth=1
	s_andn2_saveexec_b32 s13, s13
	s_cbranch_execz .LBB1_116
; %bb.85:                               ;   in Loop: Header=BB1_29 Depth=1
	s_mov_b32 s8, exec_lo
	v_cmpx_lt_i32_e32 41, v0
	s_xor_b32 s8, exec_lo, s8
	s_cbranch_execz .LBB1_91
; %bb.86:                               ;   in Loop: Header=BB1_29 Depth=1
	s_mov_b32 s9, exec_lo
                                        ; implicit-def: $vgpr106
                                        ; implicit-def: $vgpr105
	v_cmpx_lt_i32_e32 42, v0
	s_xor_b32 s9, exec_lo, s9
	s_cbranch_execz .LBB1_88
; %bb.87:                               ;   in Loop: Header=BB1_29 Depth=1
	s_clause 0x1
	global_load_dword v0, v[12:13], off
	global_load_dword v1, v[14:15], off
	s_waitcnt vmcnt(1)
	v_add_f32_e32 v105, -0.5, v0
	s_waitcnt vmcnt(0)
	v_add_f32_e32 v106, -0.5, v1
.LBB1_88:                               ;   in Loop: Header=BB1_29 Depth=1
	s_andn2_saveexec_b32 s9, s9
; %bb.89:                               ;   in Loop: Header=BB1_29 Depth=1
	v_mov_b32_e32 v106, v44
	v_mov_b32_e32 v105, v43
; %bb.90:                               ;   in Loop: Header=BB1_29 Depth=1
	s_or_b32 exec_lo, exec_lo, s9
                                        ; implicit-def: $vgpr0
.LBB1_91:                               ;   in Loop: Header=BB1_29 Depth=1
	s_andn2_saveexec_b32 s14, s8
	s_cbranch_execz .LBB1_115
; %bb.92:                               ;   in Loop: Header=BB1_29 Depth=1
	s_mov_b32 s8, exec_lo
	v_cmpx_lt_i32_e32 40, v0
	s_xor_b32 s15, exec_lo, s8
	s_cbranch_execz .LBB1_102
; %bb.93:                               ;   in Loop: Header=BB1_29 Depth=1
	global_load_dword v0, v[12:13], off
                                        ; implicit-def: $vgpr106
                                        ; implicit-def: $vgpr105
	s_waitcnt vmcnt(0)
	v_mul_f32_e32 v0, 0x40490fdb, v0
	v_mul_f32_e32 v0, v104, v0
	v_and_b32_e32 v1, 0x7fffffff, v0
	v_cmp_ngt_f32_e64 s18, 0x48000000, |v0|
	v_lshrrev_b32_e32 v10, 23, v1
	v_and_or_b32 v107, v1, s33, 0x800000
	v_add_nc_u32_e32 v108, 0xffffff88, v10
	s_and_saveexec_b32 s8, s18
	s_xor_b32 s19, exec_lo, s8
	s_cbranch_execz .LBB1_95
; %bb.94:                               ;   in Loop: Header=BB1_29 Depth=1
	v_mad_u64_u32 v[105:106], null, 0xfe5163ab, v107, 0
	v_cmp_lt_u32_e32 vcc_lo, 63, v108
	v_mov_b32_e32 v10, v106
	v_cndmask_b32_e64 v106, 0, 0xffffffc0, vcc_lo
	v_mad_u64_u32 v[109:110], null, 0x3c439041, v107, v[10:11]
	v_add_nc_u32_e32 v106, v106, v108
	v_cmp_lt_u32_e64 s8, 31, v106
	v_mov_b32_e32 v10, v110
	v_cndmask_b32_e64 v115, 0, 0xffffffe0, s8
	v_mad_u64_u32 v[110:111], null, 0xdb629599, v107, v[10:11]
	v_add_nc_u32_e32 v106, v115, v106
	v_mov_b32_e32 v10, v111
	v_cmp_lt_u32_e64 s9, 31, v106
	v_cndmask_b32_e32 v105, v110, v105, vcc_lo
	v_mad_u64_u32 v[111:112], null, 0xf534ddc0, v107, v[10:11]
	v_mov_b32_e32 v10, v112
	v_mad_u64_u32 v[112:113], null, 0xfc2757d1, v107, v[10:11]
	v_mov_b32_e32 v10, v113
	v_mad_u64_u32 v[113:114], null, 0x4e441529, v107, v[10:11]
	v_mov_b32_e32 v10, v114
	v_cndmask_b32_e32 v116, v113, v111, vcc_lo
	v_mad_u64_u32 v[114:115], null, 0xa2f9836e, v107, v[10:11]
	v_cndmask_b32_e64 v10, 0, 0xffffffe0, s9
	v_add_nc_u32_e32 v10, v10, v106
	v_cndmask_b32_e32 v114, v114, v112, vcc_lo
	v_cndmask_b32_e32 v113, v115, v113, vcc_lo
	;; [unrolled: 1-line block ×4, first 2 shown]
	v_cmp_eq_u32_e32 vcc_lo, 0, v10
	v_cndmask_b32_e64 v109, v114, v116, s8
	v_cndmask_b32_e64 v111, v113, v114, s8
	;; [unrolled: 1-line block ×3, first 2 shown]
	v_sub_nc_u32_e32 v114, 32, v10
	v_cndmask_b32_e64 v112, v112, v106, s8
	v_cndmask_b32_e64 v105, v106, v105, s8
	;; [unrolled: 1-line block ×6, first 2 shown]
	v_alignbit_b32 v115, v111, v109, v114
	v_alignbit_b32 v110, v109, v113, v114
	;; [unrolled: 1-line block ×3, first 2 shown]
	v_cndmask_b32_e32 v10, v115, v111, vcc_lo
	v_cndmask_b32_e32 v106, v110, v109, vcc_lo
	v_cndmask_b32_e32 v112, v112, v113, vcc_lo
	v_bfe_u32 v109, v10, 29, 1
	v_alignbit_b32 v110, v10, v106, 30
	v_alignbit_b32 v106, v106, v112, 30
	;; [unrolled: 1-line block ×3, first 2 shown]
	v_sub_nc_u32_e32 v111, 0, v109
	v_xor_b32_e32 v110, v110, v111
	v_xor_b32_e32 v106, v106, v111
	v_xor_b32_e32 v105, v105, v111
	v_lshrrev_b32_e32 v111, 29, v10
	v_lshrrev_b32_e32 v10, 30, v10
	v_ffbh_u32_e32 v113, v110
	v_min_u32_e32 v113, 32, v113
	v_sub_nc_u32_e32 v112, 31, v113
	v_lshlrev_b32_e32 v114, 23, v113
	v_alignbit_b32 v110, v110, v106, v112
	v_alignbit_b32 v105, v106, v105, v112
	v_lshlrev_b32_e32 v106, 31, v111
	v_alignbit_b32 v111, v110, v105, 9
	v_or_b32_e32 v112, 0.5, v106
	v_lshrrev_b32_e32 v110, 9, v110
	v_or_b32_e32 v106, 0x33000000, v106
	v_ffbh_u32_e32 v115, v111
	v_sub_nc_u32_e32 v112, v112, v114
	v_min_u32_e32 v114, 32, v115
	v_or_b32_e32 v110, v110, v112
	v_not_b32_e32 v112, v114
	v_mul_f32_e32 v115, 0x3fc90fda, v110
	v_add_lshl_u32 v113, v114, v113, 23
	v_alignbit_b32 v105, v111, v105, v112
	v_fma_f32 v111, 0x3fc90fda, v110, -v115
	v_sub_nc_u32_e32 v106, v106, v113
	v_lshrrev_b32_e32 v105, 9, v105
	v_fmac_f32_e32 v111, 0x33a22168, v110
	v_or_b32_e32 v105, v106, v105
	v_add_nc_u32_e32 v106, v109, v10
	v_fmac_f32_e32 v111, 0x3fc90fda, v105
	v_add_f32_e32 v105, v115, v111
.LBB1_95:                               ;   in Loop: Header=BB1_29 Depth=1
	s_or_saveexec_b32 s8, s19
	v_mul_f32_e64 v10, 0x3f22f983, |v0|
	v_rndne_f32_e32 v110, v10
	s_xor_b32 exec_lo, exec_lo, s8
; %bb.96:                               ;   in Loop: Header=BB1_29 Depth=1
	v_fma_f32 v105, 0xbfc90fda, v110, |v0|
	v_cvt_i32_f32_e32 v106, v110
	v_fmac_f32_e32 v105, 0xb3a22168, v110
	v_fmac_f32_e32 v105, 0xa7c234c4, v110
; %bb.97:                               ;   in Loop: Header=BB1_29 Depth=1
	s_or_b32 exec_lo, exec_lo, s8
                                        ; implicit-def: $vgpr109
                                        ; implicit-def: $vgpr10
	s_and_saveexec_b32 s8, s18
	s_xor_b32 s18, exec_lo, s8
	s_cbranch_execz .LBB1_99
; %bb.98:                               ;   in Loop: Header=BB1_29 Depth=1
	v_mad_u64_u32 v[109:110], null, 0xfe5163ab, v107, 0
	v_cmp_lt_u32_e32 vcc_lo, 63, v108
	v_cndmask_b32_e64 v115, 0, 0xffffffc0, vcc_lo
	v_mov_b32_e32 v10, v110
	v_add_nc_u32_e32 v108, v115, v108
	v_mad_u64_u32 v[110:111], null, 0x3c439041, v107, v[10:11]
	v_cmp_lt_u32_e64 s8, 31, v108
	v_mov_b32_e32 v10, v111
	v_cndmask_b32_e64 v116, 0, 0xffffffe0, s8
	v_mad_u64_u32 v[111:112], null, 0xdb629599, v107, v[10:11]
	v_mov_b32_e32 v10, v112
	v_cndmask_b32_e32 v109, v111, v109, vcc_lo
	v_mad_u64_u32 v[112:113], null, 0xf534ddc0, v107, v[10:11]
	v_mov_b32_e32 v10, v113
	v_cndmask_b32_e32 v110, v112, v110, vcc_lo
	v_mad_u64_u32 v[113:114], null, 0xfc2757d1, v107, v[10:11]
	v_mov_b32_e32 v10, v114
	v_mad_u64_u32 v[114:115], null, 0x4e441529, v107, v[10:11]
	v_mov_b32_e32 v10, v115
	v_add_nc_u32_e32 v115, v116, v108
	v_cndmask_b32_e32 v116, v114, v112, vcc_lo
	v_mad_u64_u32 v[107:108], null, 0xa2f9836e, v107, v[10:11]
	v_cmp_lt_u32_e64 s9, 31, v115
	v_cndmask_b32_e64 v10, 0, 0xffffffe0, s9
	v_cndmask_b32_e32 v107, v107, v113, vcc_lo
	v_cndmask_b32_e32 v108, v108, v114, vcc_lo
	;; [unrolled: 1-line block ×3, first 2 shown]
	v_add_nc_u32_e32 v10, v10, v115
	v_cndmask_b32_e64 v112, v107, v116, s8
	v_cndmask_b32_e64 v107, v108, v107, s8
	;; [unrolled: 1-line block ×4, first 2 shown]
	v_sub_nc_u32_e32 v114, 32, v10
	v_cmp_eq_u32_e32 vcc_lo, 0, v10
	v_cndmask_b32_e64 v107, v107, v112, s9
	v_cndmask_b32_e64 v112, v112, v108, s9
	;; [unrolled: 1-line block ×3, first 2 shown]
	v_alignbit_b32 v115, v107, v112, v114
	v_alignbit_b32 v111, v112, v108, v114
	v_cndmask_b32_e32 v10, v115, v107, vcc_lo
	v_cndmask_b32_e64 v107, v110, v109, s8
	v_cndmask_b32_e32 v109, v111, v112, vcc_lo
	v_bfe_u32 v110, v10, 29, 1
	v_cndmask_b32_e64 v107, v113, v107, s9
	v_alignbit_b32 v111, v10, v109, 30
	v_sub_nc_u32_e32 v112, 0, v110
	v_alignbit_b32 v113, v108, v107, v114
	v_xor_b32_e32 v111, v111, v112
	v_cndmask_b32_e32 v108, v113, v108, vcc_lo
	v_ffbh_u32_e32 v113, v111
	v_alignbit_b32 v109, v109, v108, 30
	v_alignbit_b32 v107, v108, v107, 30
	v_min_u32_e32 v113, 32, v113
	v_xor_b32_e32 v108, v109, v112
	v_xor_b32_e32 v107, v107, v112
	v_lshrrev_b32_e32 v112, 29, v10
	v_sub_nc_u32_e32 v109, 31, v113
	v_lshlrev_b32_e32 v114, 23, v113
	v_alignbit_b32 v111, v111, v108, v109
	v_alignbit_b32 v107, v108, v107, v109
	v_lshlrev_b32_e32 v108, 31, v112
	v_alignbit_b32 v109, v111, v107, 9
	v_or_b32_e32 v112, 0.5, v108
	v_lshrrev_b32_e32 v111, 9, v111
	v_or_b32_e32 v108, 0x33000000, v108
	v_ffbh_u32_e32 v115, v109
	v_sub_nc_u32_e32 v112, v112, v114
	v_min_u32_e32 v114, 32, v115
	v_or_b32_e32 v111, v111, v112
	v_not_b32_e32 v112, v114
	v_mul_f32_e32 v115, 0x3fc90fda, v111
	v_add_lshl_u32 v113, v114, v113, 23
	v_alignbit_b32 v107, v109, v107, v112
	v_fma_f32 v109, 0x3fc90fda, v111, -v115
	v_sub_nc_u32_e32 v108, v108, v113
	v_lshrrev_b32_e32 v107, 9, v107
	v_fmac_f32_e32 v109, 0x33a22168, v111
	v_or_b32_e32 v107, v108, v107
	v_fmac_f32_e32 v109, 0x3fc90fda, v107
	v_lshrrev_b32_e32 v107, 30, v10
	v_add_f32_e32 v10, v115, v109
	v_add_nc_u32_e32 v109, v110, v107
                                        ; implicit-def: $vgpr110
	s_andn2_saveexec_b32 s8, s18
	s_cbranch_execnz .LBB1_100
	s_branch .LBB1_101
.LBB1_99:                               ;   in Loop: Header=BB1_29 Depth=1
	s_andn2_saveexec_b32 s8, s18
.LBB1_100:                              ;   in Loop: Header=BB1_29 Depth=1
	v_fma_f32 v10, 0xbfc90fda, v110, |v0|
	v_cvt_i32_f32_e32 v109, v110
	v_fmac_f32_e32 v10, 0xb3a22168, v110
	v_fmac_f32_e32 v10, 0xa7c234c4, v110
.LBB1_101:                              ;   in Loop: Header=BB1_29 Depth=1
	s_or_b32 exec_lo, exec_lo, s8
	v_mul_f32_e32 v107, v105, v105
	v_mul_f32_e32 v110, v10, v10
	v_and_b32_e32 v108, 1, v106
	v_lshlrev_b32_e32 v106, 30, v106
	v_and_b32_e32 v115, 1, v109
	v_fmaak_f32 v111, s27, v107, 0x3c0881c4
	v_fmaak_f32 v112, s34, v107, 0xbab64f3b
	v_fmaak_f32 v113, s27, v110, 0x3c0881c4
	v_fmaak_f32 v114, s34, v110, 0xbab64f3b
	v_cmp_eq_u32_e32 vcc_lo, 0, v108
	v_fmaak_f32 v111, v107, v111, 0xbe2aaa9d
	v_fmaak_f32 v112, v107, v112, 0x3d2aabf7
	;; [unrolled: 1-line block ×4, first 2 shown]
	v_xor_b32_e32 v1, v1, v0
	v_mul_f32_e32 v111, v107, v111
	v_fmaak_f32 v112, v107, v112, 0xbf000004
	v_mul_f32_e32 v113, v110, v113
	v_fmaak_f32 v114, v110, v114, 0xbf000004
	v_lshlrev_b32_e32 v109, 30, v109
	v_fmac_f32_e32 v105, v105, v111
	v_fma_f32 v107, v107, v112, 1.0
	v_and_b32_e32 v106, 0x80000000, v106
	v_fmac_f32_e32 v10, v10, v113
	v_fma_f32 v110, v110, v114, 1.0
	v_cndmask_b32_e32 v105, v107, v105, vcc_lo
	v_cmp_eq_u32_e32 vcc_lo, 0, v115
	v_and_b32_e32 v107, 0x80000000, v109
	v_xor3_b32 v1, v1, v106, v105
	v_cndmask_b32_e64 v10, -v10, v110, vcc_lo
	v_cmp_class_f32_e64 vcc_lo, v0, 0x1f8
	v_xor_b32_e32 v10, v107, v10
	v_cndmask_b32_e32 v105, 0x7fc00000, v1, vcc_lo
	v_cndmask_b32_e32 v0, 0x7fc00000, v10, vcc_lo
	v_mul_f32_e32 v1, v105, v105
	v_div_scale_f32 v10, null, v0, v0, v1
	v_rcp_f32_e32 v106, v10
	v_fma_f32 v107, -v10, v106, 1.0
	v_fmac_f32_e32 v106, v107, v106
	v_div_scale_f32 v107, vcc_lo, v1, v0, v1
	v_mul_f32_e32 v108, v107, v106
	v_fma_f32 v109, -v10, v108, v107
	v_fmac_f32_e32 v108, v109, v106
	v_fma_f32 v10, -v10, v108, v107
	v_div_fmas_f32 v10, v10, v106, v108
	v_div_fixup_f32 v106, v10, v0, v1
                                        ; implicit-def: $vgpr0
.LBB1_102:                              ;   in Loop: Header=BB1_29 Depth=1
	s_andn2_saveexec_b32 s15, s15
	s_cbranch_execz .LBB1_114
; %bb.103:                              ;   in Loop: Header=BB1_29 Depth=1
	s_mov_b32 s18, exec_lo
	v_cmpx_eq_u32_e32 34, v0
	s_cbranch_execz .LBB1_113
; %bb.104:                              ;   in Loop: Header=BB1_29 Depth=1
	s_clause 0x1
	global_load_dword v1, v[12:13], off
	global_load_dword v0, v[14:15], off
                                        ; implicit-def: $vgpr107
                                        ; implicit-def: $vgpr106
	s_waitcnt vmcnt(1)
	v_add_f32_e32 v1, v1, v1
	v_mul_f32_e32 v1, 0x40490fdb, v1
	v_and_b32_e32 v105, 0x7fffffff, v1
	v_cmp_ngt_f32_e64 s19, 0x48000000, |v1|
	v_lshrrev_b32_e32 v10, 23, v105
	v_and_or_b32 v108, v105, s33, 0x800000
	v_add_nc_u32_e32 v109, 0xffffff88, v10
	s_and_saveexec_b32 s8, s19
	s_xor_b32 s20, exec_lo, s8
	s_cbranch_execz .LBB1_106
; %bb.105:                              ;   in Loop: Header=BB1_29 Depth=1
	v_mad_u64_u32 v[106:107], null, 0xfe5163ab, v108, 0
	v_cmp_lt_u32_e32 vcc_lo, 63, v109
	v_mov_b32_e32 v10, v107
	v_cndmask_b32_e64 v107, 0, 0xffffffc0, vcc_lo
	v_mad_u64_u32 v[110:111], null, 0x3c439041, v108, v[10:11]
	v_add_nc_u32_e32 v107, v107, v109
	v_cmp_lt_u32_e64 s8, 31, v107
	v_mov_b32_e32 v10, v111
	v_cndmask_b32_e64 v116, 0, 0xffffffe0, s8
	v_mad_u64_u32 v[111:112], null, 0xdb629599, v108, v[10:11]
	v_add_nc_u32_e32 v107, v116, v107
	v_mov_b32_e32 v10, v112
	v_cmp_lt_u32_e64 s9, 31, v107
	v_cndmask_b32_e32 v106, v111, v106, vcc_lo
	v_mad_u64_u32 v[112:113], null, 0xf534ddc0, v108, v[10:11]
	v_mov_b32_e32 v10, v113
	v_mad_u64_u32 v[113:114], null, 0xfc2757d1, v108, v[10:11]
	v_mov_b32_e32 v10, v114
	;; [unrolled: 2-line block ×3, first 2 shown]
	v_cndmask_b32_e32 v117, v114, v112, vcc_lo
	v_mad_u64_u32 v[115:116], null, 0xa2f9836e, v108, v[10:11]
	v_cndmask_b32_e64 v10, 0, 0xffffffe0, s9
	v_add_nc_u32_e32 v10, v10, v107
	v_cndmask_b32_e32 v115, v115, v113, vcc_lo
	v_cndmask_b32_e32 v114, v116, v114, vcc_lo
	;; [unrolled: 1-line block ×4, first 2 shown]
	v_cmp_eq_u32_e32 vcc_lo, 0, v10
	v_cndmask_b32_e64 v110, v115, v117, s8
	v_cndmask_b32_e64 v112, v114, v115, s8
	;; [unrolled: 1-line block ×3, first 2 shown]
	v_sub_nc_u32_e32 v115, 32, v10
	v_cndmask_b32_e64 v113, v113, v107, s8
	v_cndmask_b32_e64 v106, v107, v106, s8
	;; [unrolled: 1-line block ×6, first 2 shown]
	v_alignbit_b32 v116, v112, v110, v115
	v_alignbit_b32 v111, v110, v114, v115
	;; [unrolled: 1-line block ×3, first 2 shown]
	v_cndmask_b32_e32 v10, v116, v112, vcc_lo
	v_cndmask_b32_e32 v107, v111, v110, vcc_lo
	;; [unrolled: 1-line block ×3, first 2 shown]
	v_bfe_u32 v110, v10, 29, 1
	v_alignbit_b32 v111, v10, v107, 30
	v_alignbit_b32 v107, v107, v113, 30
	;; [unrolled: 1-line block ×3, first 2 shown]
	v_sub_nc_u32_e32 v112, 0, v110
	v_xor_b32_e32 v111, v111, v112
	v_xor_b32_e32 v107, v107, v112
	;; [unrolled: 1-line block ×3, first 2 shown]
	v_lshrrev_b32_e32 v112, 29, v10
	v_lshrrev_b32_e32 v10, 30, v10
	v_ffbh_u32_e32 v114, v111
	v_min_u32_e32 v114, 32, v114
	v_sub_nc_u32_e32 v113, 31, v114
	v_lshlrev_b32_e32 v115, 23, v114
	v_alignbit_b32 v111, v111, v107, v113
	v_alignbit_b32 v106, v107, v106, v113
	v_lshlrev_b32_e32 v107, 31, v112
	v_alignbit_b32 v112, v111, v106, 9
	v_or_b32_e32 v113, 0.5, v107
	v_lshrrev_b32_e32 v111, 9, v111
	v_or_b32_e32 v107, 0x33000000, v107
	v_ffbh_u32_e32 v116, v112
	v_sub_nc_u32_e32 v113, v113, v115
	v_min_u32_e32 v115, 32, v116
	v_or_b32_e32 v111, v111, v113
	v_not_b32_e32 v113, v115
	v_mul_f32_e32 v116, 0x3fc90fda, v111
	v_add_lshl_u32 v114, v115, v114, 23
	v_alignbit_b32 v106, v112, v106, v113
	v_fma_f32 v112, 0x3fc90fda, v111, -v116
	v_sub_nc_u32_e32 v107, v107, v114
	v_lshrrev_b32_e32 v106, 9, v106
	v_fmac_f32_e32 v112, 0x33a22168, v111
	v_or_b32_e32 v106, v107, v106
	v_add_nc_u32_e32 v107, v110, v10
	v_fmac_f32_e32 v112, 0x3fc90fda, v106
	v_add_f32_e32 v106, v116, v112
.LBB1_106:                              ;   in Loop: Header=BB1_29 Depth=1
	s_or_saveexec_b32 s8, s20
	v_mul_f32_e64 v10, 0x3f22f983, |v1|
	v_rndne_f32_e32 v111, v10
	s_xor_b32 exec_lo, exec_lo, s8
; %bb.107:                              ;   in Loop: Header=BB1_29 Depth=1
	v_fma_f32 v106, 0xbfc90fda, v111, |v1|
	v_cvt_i32_f32_e32 v107, v111
	v_fmac_f32_e32 v106, 0xb3a22168, v111
	v_fmac_f32_e32 v106, 0xa7c234c4, v111
; %bb.108:                              ;   in Loop: Header=BB1_29 Depth=1
	s_or_b32 exec_lo, exec_lo, s8
                                        ; implicit-def: $vgpr110
                                        ; implicit-def: $vgpr10
	s_and_saveexec_b32 s8, s19
	s_xor_b32 s19, exec_lo, s8
	s_cbranch_execz .LBB1_110
; %bb.109:                              ;   in Loop: Header=BB1_29 Depth=1
	v_mad_u64_u32 v[110:111], null, 0xfe5163ab, v108, 0
	v_cmp_lt_u32_e32 vcc_lo, 63, v109
	v_cndmask_b32_e64 v116, 0, 0xffffffc0, vcc_lo
	v_mov_b32_e32 v10, v111
	v_add_nc_u32_e32 v109, v116, v109
	v_mad_u64_u32 v[111:112], null, 0x3c439041, v108, v[10:11]
	v_cmp_lt_u32_e64 s8, 31, v109
	v_mov_b32_e32 v10, v112
	v_cndmask_b32_e64 v117, 0, 0xffffffe0, s8
	v_mad_u64_u32 v[112:113], null, 0xdb629599, v108, v[10:11]
	v_mov_b32_e32 v10, v113
	v_cndmask_b32_e32 v110, v112, v110, vcc_lo
	v_mad_u64_u32 v[113:114], null, 0xf534ddc0, v108, v[10:11]
	v_mov_b32_e32 v10, v114
	v_cndmask_b32_e32 v111, v113, v111, vcc_lo
	v_mad_u64_u32 v[114:115], null, 0xfc2757d1, v108, v[10:11]
	v_mov_b32_e32 v10, v115
	v_mad_u64_u32 v[115:116], null, 0x4e441529, v108, v[10:11]
	v_mov_b32_e32 v10, v116
	v_add_nc_u32_e32 v116, v117, v109
	v_cndmask_b32_e32 v117, v115, v113, vcc_lo
	v_mad_u64_u32 v[108:109], null, 0xa2f9836e, v108, v[10:11]
	v_cmp_lt_u32_e64 s9, 31, v116
	v_cndmask_b32_e64 v10, 0, 0xffffffe0, s9
	v_cndmask_b32_e32 v108, v108, v114, vcc_lo
	v_cndmask_b32_e32 v109, v109, v115, vcc_lo
	;; [unrolled: 1-line block ×3, first 2 shown]
	v_add_nc_u32_e32 v10, v10, v116
	v_cndmask_b32_e64 v113, v108, v117, s8
	v_cndmask_b32_e64 v108, v109, v108, s8
	;; [unrolled: 1-line block ×4, first 2 shown]
	v_sub_nc_u32_e32 v115, 32, v10
	v_cmp_eq_u32_e32 vcc_lo, 0, v10
	v_cndmask_b32_e64 v108, v108, v113, s9
	v_cndmask_b32_e64 v113, v113, v109, s9
	v_cndmask_b32_e64 v109, v109, v114, s9
	v_alignbit_b32 v116, v108, v113, v115
	v_alignbit_b32 v112, v113, v109, v115
	v_cndmask_b32_e32 v10, v116, v108, vcc_lo
	v_cndmask_b32_e64 v108, v111, v110, s8
	v_cndmask_b32_e32 v110, v112, v113, vcc_lo
	v_bfe_u32 v111, v10, 29, 1
	v_cndmask_b32_e64 v108, v114, v108, s9
	v_alignbit_b32 v112, v10, v110, 30
	v_sub_nc_u32_e32 v113, 0, v111
	v_alignbit_b32 v114, v109, v108, v115
	v_xor_b32_e32 v112, v112, v113
	v_cndmask_b32_e32 v109, v114, v109, vcc_lo
	v_ffbh_u32_e32 v114, v112
	v_alignbit_b32 v110, v110, v109, 30
	v_alignbit_b32 v108, v109, v108, 30
	v_min_u32_e32 v114, 32, v114
	v_xor_b32_e32 v109, v110, v113
	v_xor_b32_e32 v108, v108, v113
	v_lshrrev_b32_e32 v113, 29, v10
	v_sub_nc_u32_e32 v110, 31, v114
	v_lshlrev_b32_e32 v115, 23, v114
	v_alignbit_b32 v112, v112, v109, v110
	v_alignbit_b32 v108, v109, v108, v110
	v_lshlrev_b32_e32 v109, 31, v113
	v_alignbit_b32 v110, v112, v108, 9
	v_or_b32_e32 v113, 0.5, v109
	v_lshrrev_b32_e32 v112, 9, v112
	v_or_b32_e32 v109, 0x33000000, v109
	v_ffbh_u32_e32 v116, v110
	v_sub_nc_u32_e32 v113, v113, v115
	v_min_u32_e32 v115, 32, v116
	v_or_b32_e32 v112, v112, v113
	v_not_b32_e32 v113, v115
	v_mul_f32_e32 v116, 0x3fc90fda, v112
	v_add_lshl_u32 v114, v115, v114, 23
	v_alignbit_b32 v108, v110, v108, v113
	v_fma_f32 v110, 0x3fc90fda, v112, -v116
	v_sub_nc_u32_e32 v109, v109, v114
	v_lshrrev_b32_e32 v108, 9, v108
	v_fmac_f32_e32 v110, 0x33a22168, v112
	v_or_b32_e32 v108, v109, v108
	v_fmac_f32_e32 v110, 0x3fc90fda, v108
	v_lshrrev_b32_e32 v108, 30, v10
	v_add_f32_e32 v10, v116, v110
	v_add_nc_u32_e32 v110, v111, v108
                                        ; implicit-def: $vgpr111
	s_andn2_saveexec_b32 s8, s19
	s_cbranch_execnz .LBB1_111
	s_branch .LBB1_112
.LBB1_110:                              ;   in Loop: Header=BB1_29 Depth=1
	s_andn2_saveexec_b32 s8, s19
.LBB1_111:                              ;   in Loop: Header=BB1_29 Depth=1
	v_fma_f32 v10, 0xbfc90fda, v111, |v1|
	v_cvt_i32_f32_e32 v110, v111
	v_fmac_f32_e32 v10, 0xb3a22168, v111
	v_fmac_f32_e32 v10, 0xa7c234c4, v111
.LBB1_112:                              ;   in Loop: Header=BB1_29 Depth=1
	s_or_b32 exec_lo, exec_lo, s8
	v_mul_f32_e32 v108, v106, v106
	v_mul_f32_e32 v111, v10, v10
	v_and_b32_e32 v109, 1, v107
	v_and_b32_e32 v114, 1, v110
	v_lshlrev_b32_e32 v107, 30, v107
	v_fmaak_f32 v112, s27, v108, 0x3c0881c4
	v_fmaak_f32 v113, s34, v108, 0xbab64f3b
	;; [unrolled: 1-line block ×4, first 2 shown]
	v_cmp_eq_u32_e32 vcc_lo, 0, v109
	v_fmaak_f32 v112, v108, v112, 0xbe2aaa9d
	v_fmaak_f32 v113, v108, v113, 0x3d2aabf7
	;; [unrolled: 1-line block ×4, first 2 shown]
	v_lshlrev_b32_e32 v110, 30, v110
	v_mul_f32_e32 v112, v108, v112
	v_fmaak_f32 v113, v108, v113, 0xbf000004
	v_mul_f32_e32 v115, v111, v115
	v_fmaak_f32 v116, v111, v116, 0xbf000004
	v_and_b32_e32 v107, 0x80000000, v107
	v_fmac_f32_e32 v106, v106, v112
	v_fma_f32 v108, v108, v113, 1.0
	v_fmac_f32_e32 v10, v10, v115
	v_fma_f32 v111, v111, v116, 1.0
	v_and_b32_e32 v110, 0x80000000, v110
	v_xor_b32_e32 v105, v105, v1
	v_cndmask_b32_e64 v106, -v106, v108, vcc_lo
	v_cmp_eq_u32_e32 vcc_lo, 0, v114
	v_xor_b32_e32 v106, v107, v106
	v_cndmask_b32_e32 v10, v111, v10, vcc_lo
	v_cmp_class_f32_e64 vcc_lo, v1, 0x1f8
	v_xor3_b32 v10, v105, v110, v10
	v_cndmask_b32_e32 v1, 0x7fc00000, v106, vcc_lo
	v_cndmask_b32_e32 v10, 0x7fc00000, v10, vcc_lo
	s_waitcnt vmcnt(0)
	v_mul_f32_e32 v105, v0, v1
	v_mul_f32_e32 v106, v0, v10
.LBB1_113:                              ;   in Loop: Header=BB1_29 Depth=1
	s_or_b32 exec_lo, exec_lo, s18
.LBB1_114:                              ;   in Loop: Header=BB1_29 Depth=1
	s_or_b32 exec_lo, exec_lo, s15
.LBB1_115:                              ;   in Loop: Header=BB1_29 Depth=1
	s_or_b32 exec_lo, exec_lo, s14
.LBB1_116:                              ;   in Loop: Header=BB1_29 Depth=1
	s_or_b32 exec_lo, exec_lo, s13
                                        ; implicit-def: $vgpr0
.LBB1_117:                              ;   in Loop: Header=BB1_29 Depth=1
	s_andn2_saveexec_b32 s12, s12
	s_cbranch_execz .LBB1_175
; %bb.118:                              ;   in Loop: Header=BB1_29 Depth=1
	s_mov_b32 s8, exec_lo
	v_cmpx_lt_i32_e32 21, v0
	s_xor_b32 s13, exec_lo, s8
	s_cbranch_execz .LBB1_156
; %bb.119:                              ;   in Loop: Header=BB1_29 Depth=1
	s_mov_b32 s8, exec_lo
	v_cmpx_lt_i32_e32 27, v0
	s_xor_b32 s14, exec_lo, s8
	;; [unrolled: 5-line block ×4, first 2 shown]
	s_cbranch_execz .LBB1_133
; %bb.122:                              ;   in Loop: Header=BB1_29 Depth=1
	s_mov_b32 s19, exec_lo
	v_cmpx_eq_u32_e32 31, v0
	s_cbranch_execz .LBB1_132
; %bb.123:                              ;   in Loop: Header=BB1_29 Depth=1
	s_clause 0x1
	global_load_dword v1, v[12:13], off
	global_load_dword v0, v[14:15], off
                                        ; implicit-def: $vgpr109
                                        ; implicit-def: $vgpr108
	s_waitcnt vmcnt(1)
	v_add_f32_e32 v1, v1, v1
	v_mul_f32_e32 v1, 0x40490fdb, v1
	v_and_b32_e32 v107, 0x7fffffff, v1
	v_cmp_ngt_f32_e64 s20, 0x48000000, |v1|
	v_lshrrev_b32_e32 v10, 23, v107
	v_and_or_b32 v110, v107, s33, 0x800000
	v_add_nc_u32_e32 v111, 0xffffff88, v10
	s_and_saveexec_b32 s8, s20
	s_xor_b32 s21, exec_lo, s8
	s_cbranch_execz .LBB1_125
; %bb.124:                              ;   in Loop: Header=BB1_29 Depth=1
	v_mad_u64_u32 v[108:109], null, 0xfe5163ab, v110, 0
	v_cmp_lt_u32_e32 vcc_lo, 63, v111
	v_mov_b32_e32 v10, v109
	v_cndmask_b32_e64 v109, 0, 0xffffffc0, vcc_lo
	v_mad_u64_u32 v[112:113], null, 0x3c439041, v110, v[10:11]
	v_add_nc_u32_e32 v109, v109, v111
	v_cmp_lt_u32_e64 s8, 31, v109
	v_mov_b32_e32 v10, v113
	v_cndmask_b32_e64 v118, 0, 0xffffffe0, s8
	v_mad_u64_u32 v[113:114], null, 0xdb629599, v110, v[10:11]
	v_add_nc_u32_e32 v109, v118, v109
	v_mov_b32_e32 v10, v114
	v_cmp_lt_u32_e64 s9, 31, v109
	v_cndmask_b32_e32 v108, v113, v108, vcc_lo
	v_mad_u64_u32 v[114:115], null, 0xf534ddc0, v110, v[10:11]
	v_mov_b32_e32 v10, v115
	v_mad_u64_u32 v[115:116], null, 0xfc2757d1, v110, v[10:11]
	v_mov_b32_e32 v10, v116
	;; [unrolled: 2-line block ×3, first 2 shown]
	v_cndmask_b32_e32 v119, v116, v114, vcc_lo
	v_mad_u64_u32 v[117:118], null, 0xa2f9836e, v110, v[10:11]
	v_cndmask_b32_e64 v10, 0, 0xffffffe0, s9
	v_add_nc_u32_e32 v10, v10, v109
	v_cndmask_b32_e32 v117, v117, v115, vcc_lo
	v_cndmask_b32_e32 v116, v118, v116, vcc_lo
	;; [unrolled: 1-line block ×4, first 2 shown]
	v_cmp_eq_u32_e32 vcc_lo, 0, v10
	v_cndmask_b32_e64 v112, v117, v119, s8
	v_cndmask_b32_e64 v114, v116, v117, s8
	;; [unrolled: 1-line block ×3, first 2 shown]
	v_sub_nc_u32_e32 v117, 32, v10
	v_cndmask_b32_e64 v115, v115, v109, s8
	v_cndmask_b32_e64 v108, v109, v108, s8
	;; [unrolled: 1-line block ×6, first 2 shown]
	v_alignbit_b32 v118, v114, v112, v117
	v_alignbit_b32 v113, v112, v116, v117
	;; [unrolled: 1-line block ×3, first 2 shown]
	v_cndmask_b32_e32 v10, v118, v114, vcc_lo
	v_cndmask_b32_e32 v109, v113, v112, vcc_lo
	;; [unrolled: 1-line block ×3, first 2 shown]
	v_bfe_u32 v112, v10, 29, 1
	v_alignbit_b32 v113, v10, v109, 30
	v_alignbit_b32 v109, v109, v115, 30
	;; [unrolled: 1-line block ×3, first 2 shown]
	v_sub_nc_u32_e32 v114, 0, v112
	v_xor_b32_e32 v113, v113, v114
	v_xor_b32_e32 v109, v109, v114
	;; [unrolled: 1-line block ×3, first 2 shown]
	v_lshrrev_b32_e32 v114, 29, v10
	v_lshrrev_b32_e32 v10, 30, v10
	v_ffbh_u32_e32 v116, v113
	v_min_u32_e32 v116, 32, v116
	v_sub_nc_u32_e32 v115, 31, v116
	v_lshlrev_b32_e32 v117, 23, v116
	v_alignbit_b32 v113, v113, v109, v115
	v_alignbit_b32 v108, v109, v108, v115
	v_lshlrev_b32_e32 v109, 31, v114
	v_alignbit_b32 v114, v113, v108, 9
	v_or_b32_e32 v115, 0.5, v109
	v_lshrrev_b32_e32 v113, 9, v113
	v_or_b32_e32 v109, 0x33000000, v109
	v_ffbh_u32_e32 v118, v114
	v_sub_nc_u32_e32 v115, v115, v117
	v_min_u32_e32 v117, 32, v118
	v_or_b32_e32 v113, v113, v115
	v_not_b32_e32 v115, v117
	v_mul_f32_e32 v118, 0x3fc90fda, v113
	v_add_lshl_u32 v116, v117, v116, 23
	v_alignbit_b32 v108, v114, v108, v115
	v_fma_f32 v114, 0x3fc90fda, v113, -v118
	v_sub_nc_u32_e32 v109, v109, v116
	v_lshrrev_b32_e32 v108, 9, v108
	v_fmac_f32_e32 v114, 0x33a22168, v113
	v_or_b32_e32 v108, v109, v108
	v_add_nc_u32_e32 v109, v112, v10
	v_fmac_f32_e32 v114, 0x3fc90fda, v108
	v_add_f32_e32 v108, v118, v114
.LBB1_125:                              ;   in Loop: Header=BB1_29 Depth=1
	s_or_saveexec_b32 s8, s21
	v_mul_f32_e64 v10, 0x3f22f983, |v1|
	v_rndne_f32_e32 v113, v10
	s_xor_b32 exec_lo, exec_lo, s8
; %bb.126:                              ;   in Loop: Header=BB1_29 Depth=1
	v_fma_f32 v108, 0xbfc90fda, v113, |v1|
	v_cvt_i32_f32_e32 v109, v113
	v_fmac_f32_e32 v108, 0xb3a22168, v113
	v_fmac_f32_e32 v108, 0xa7c234c4, v113
; %bb.127:                              ;   in Loop: Header=BB1_29 Depth=1
	s_or_b32 exec_lo, exec_lo, s8
                                        ; implicit-def: $vgpr112
                                        ; implicit-def: $vgpr10
	s_and_saveexec_b32 s8, s20
	s_xor_b32 s20, exec_lo, s8
	s_cbranch_execz .LBB1_129
; %bb.128:                              ;   in Loop: Header=BB1_29 Depth=1
	v_mad_u64_u32 v[112:113], null, 0xfe5163ab, v110, 0
	v_cmp_lt_u32_e32 vcc_lo, 63, v111
	v_cndmask_b32_e64 v118, 0, 0xffffffc0, vcc_lo
	v_mov_b32_e32 v10, v113
	v_add_nc_u32_e32 v111, v118, v111
	v_mad_u64_u32 v[113:114], null, 0x3c439041, v110, v[10:11]
	v_cmp_lt_u32_e64 s8, 31, v111
	v_mov_b32_e32 v10, v114
	v_cndmask_b32_e64 v119, 0, 0xffffffe0, s8
	v_mad_u64_u32 v[114:115], null, 0xdb629599, v110, v[10:11]
	v_mov_b32_e32 v10, v115
	v_cndmask_b32_e32 v112, v114, v112, vcc_lo
	v_mad_u64_u32 v[115:116], null, 0xf534ddc0, v110, v[10:11]
	v_mov_b32_e32 v10, v116
	v_cndmask_b32_e32 v113, v115, v113, vcc_lo
	v_mad_u64_u32 v[116:117], null, 0xfc2757d1, v110, v[10:11]
	v_mov_b32_e32 v10, v117
	v_mad_u64_u32 v[117:118], null, 0x4e441529, v110, v[10:11]
	v_mov_b32_e32 v10, v118
	v_add_nc_u32_e32 v118, v119, v111
	v_cndmask_b32_e32 v119, v117, v115, vcc_lo
	v_mad_u64_u32 v[110:111], null, 0xa2f9836e, v110, v[10:11]
	v_cmp_lt_u32_e64 s9, 31, v118
	v_cndmask_b32_e64 v10, 0, 0xffffffe0, s9
	v_cndmask_b32_e32 v110, v110, v116, vcc_lo
	v_cndmask_b32_e32 v111, v111, v117, vcc_lo
	v_cndmask_b32_e32 v116, v116, v114, vcc_lo
	v_add_nc_u32_e32 v10, v10, v118
	v_cndmask_b32_e64 v115, v110, v119, s8
	v_cndmask_b32_e64 v110, v111, v110, s8
	;; [unrolled: 1-line block ×4, first 2 shown]
	v_sub_nc_u32_e32 v117, 32, v10
	v_cmp_eq_u32_e32 vcc_lo, 0, v10
	v_cndmask_b32_e64 v110, v110, v115, s9
	v_cndmask_b32_e64 v115, v115, v111, s9
	;; [unrolled: 1-line block ×3, first 2 shown]
	v_alignbit_b32 v118, v110, v115, v117
	v_alignbit_b32 v114, v115, v111, v117
	v_cndmask_b32_e32 v10, v118, v110, vcc_lo
	v_cndmask_b32_e64 v110, v113, v112, s8
	v_cndmask_b32_e32 v112, v114, v115, vcc_lo
	v_bfe_u32 v113, v10, 29, 1
	v_cndmask_b32_e64 v110, v116, v110, s9
	v_alignbit_b32 v114, v10, v112, 30
	v_sub_nc_u32_e32 v115, 0, v113
	v_alignbit_b32 v116, v111, v110, v117
	v_xor_b32_e32 v114, v114, v115
	v_cndmask_b32_e32 v111, v116, v111, vcc_lo
	v_ffbh_u32_e32 v116, v114
	v_alignbit_b32 v112, v112, v111, 30
	v_alignbit_b32 v110, v111, v110, 30
	v_min_u32_e32 v116, 32, v116
	v_xor_b32_e32 v111, v112, v115
	v_xor_b32_e32 v110, v110, v115
	v_lshrrev_b32_e32 v115, 29, v10
	v_sub_nc_u32_e32 v112, 31, v116
	v_lshlrev_b32_e32 v117, 23, v116
	v_alignbit_b32 v114, v114, v111, v112
	v_alignbit_b32 v110, v111, v110, v112
	v_lshlrev_b32_e32 v111, 31, v115
	v_alignbit_b32 v112, v114, v110, 9
	v_or_b32_e32 v115, 0.5, v111
	v_lshrrev_b32_e32 v114, 9, v114
	v_or_b32_e32 v111, 0x33000000, v111
	v_ffbh_u32_e32 v118, v112
	v_sub_nc_u32_e32 v115, v115, v117
	v_min_u32_e32 v117, 32, v118
	v_or_b32_e32 v114, v114, v115
	v_not_b32_e32 v115, v117
	v_mul_f32_e32 v118, 0x3fc90fda, v114
	v_add_lshl_u32 v116, v117, v116, 23
	v_alignbit_b32 v110, v112, v110, v115
	v_fma_f32 v112, 0x3fc90fda, v114, -v118
	v_sub_nc_u32_e32 v111, v111, v116
	v_lshrrev_b32_e32 v110, 9, v110
	v_fmac_f32_e32 v112, 0x33a22168, v114
	v_or_b32_e32 v110, v111, v110
	v_fmac_f32_e32 v112, 0x3fc90fda, v110
	v_lshrrev_b32_e32 v110, 30, v10
	v_add_f32_e32 v10, v118, v112
	v_add_nc_u32_e32 v112, v113, v110
                                        ; implicit-def: $vgpr113
	s_andn2_saveexec_b32 s8, s20
	s_cbranch_execnz .LBB1_130
	s_branch .LBB1_131
.LBB1_129:                              ;   in Loop: Header=BB1_29 Depth=1
	s_andn2_saveexec_b32 s8, s20
.LBB1_130:                              ;   in Loop: Header=BB1_29 Depth=1
	v_fma_f32 v10, 0xbfc90fda, v113, |v1|
	v_cvt_i32_f32_e32 v112, v113
	v_fmac_f32_e32 v10, 0xb3a22168, v113
	v_fmac_f32_e32 v10, 0xa7c234c4, v113
.LBB1_131:                              ;   in Loop: Header=BB1_29 Depth=1
	s_or_b32 exec_lo, exec_lo, s8
	v_mul_f32_e32 v110, v108, v108
	v_mul_f32_e32 v113, v10, v10
	v_and_b32_e32 v111, 1, v109
	v_and_b32_e32 v116, 1, v112
	v_lshlrev_b32_e32 v109, 30, v109
	v_fmaak_f32 v114, s27, v110, 0x3c0881c4
	v_fmaak_f32 v115, s34, v110, 0xbab64f3b
	;; [unrolled: 1-line block ×4, first 2 shown]
	v_cmp_eq_u32_e32 vcc_lo, 0, v111
	v_fmaak_f32 v114, v110, v114, 0xbe2aaa9d
	v_fmaak_f32 v115, v110, v115, 0x3d2aabf7
	;; [unrolled: 1-line block ×4, first 2 shown]
	v_lshlrev_b32_e32 v112, 30, v112
	v_mul_f32_e32 v114, v110, v114
	v_fmaak_f32 v115, v110, v115, 0xbf000004
	v_mul_f32_e32 v117, v113, v117
	v_fmaak_f32 v118, v113, v118, 0xbf000004
	v_and_b32_e32 v109, 0x80000000, v109
	v_fmac_f32_e32 v108, v108, v114
	v_fma_f32 v110, v110, v115, 1.0
	v_fmac_f32_e32 v10, v10, v117
	v_fma_f32 v113, v113, v118, 1.0
	v_and_b32_e32 v112, 0x80000000, v112
	v_xor_b32_e32 v107, v107, v1
	v_cndmask_b32_e64 v108, -v108, v110, vcc_lo
	v_cmp_eq_u32_e32 vcc_lo, 0, v116
	v_xor_b32_e32 v108, v109, v108
	v_cndmask_b32_e32 v10, v113, v10, vcc_lo
	v_cmp_class_f32_e64 vcc_lo, v1, 0x1f8
	v_xor3_b32 v1, v107, v112, v10
	s_waitcnt vmcnt(0)
	v_mul_f32_e32 v10, v105, v0
	v_mul_f32_e32 v0, v106, v0
	v_cndmask_b32_e32 v105, 0x7fc00000, v108, vcc_lo
	v_cndmask_b32_e32 v1, 0x7fc00000, v1, vcc_lo
	v_mul_f32_e32 v105, v10, v105
	v_mul_f32_e32 v106, v0, v1
.LBB1_132:                              ;   in Loop: Header=BB1_29 Depth=1
	s_or_b32 exec_lo, exec_lo, s19
                                        ; implicit-def: $vgpr0
.LBB1_133:                              ;   in Loop: Header=BB1_29 Depth=1
	s_andn2_saveexec_b32 s8, s18
	s_cbranch_execz .LBB1_137
; %bb.134:                              ;   in Loop: Header=BB1_29 Depth=1
	s_mov_b32 s9, exec_lo
	v_cmpx_eq_u32_e32 29, v0
; %bb.135:                              ;   in Loop: Header=BB1_29 Depth=1
	v_mov_b32_e32 v106, v3
	v_mov_b32_e32 v105, v42
; %bb.136:                              ;   in Loop: Header=BB1_29 Depth=1
	s_or_b32 exec_lo, exec_lo, s9
.LBB1_137:                              ;   in Loop: Header=BB1_29 Depth=1
	s_or_b32 exec_lo, exec_lo, s8
.LBB1_138:                              ;   in Loop: Header=BB1_29 Depth=1
	s_andn2_saveexec_b32 s8, s15
; %bb.139:                              ;   in Loop: Header=BB1_29 Depth=1
	v_mov_b32_e32 v106, v28
	v_mov_b32_e32 v105, v27
; %bb.140:                              ;   in Loop: Header=BB1_29 Depth=1
	s_or_b32 exec_lo, exec_lo, s8
                                        ; implicit-def: $vgpr0
.LBB1_141:                              ;   in Loop: Header=BB1_29 Depth=1
	s_andn2_saveexec_b32 s9, s14
	s_cbranch_execz .LBB1_155
; %bb.142:                              ;   in Loop: Header=BB1_29 Depth=1
	s_mov_b32 s8, exec_lo
	v_cmpx_lt_i32_e32 26, v0
	s_xor_b32 s8, exec_lo, s8
; %bb.143:                              ;   in Loop: Header=BB1_29 Depth=1
                                        ; implicit-def: $vgpr106
                                        ; implicit-def: $vgpr105
                                        ; implicit-def: $vgpr0
; %bb.144:                              ;   in Loop: Header=BB1_29 Depth=1
	s_or_saveexec_b32 s14, s8
	v_mov_b32_e32 v1, v30
	v_mov_b32_e32 v10, v29
	s_xor_b32 exec_lo, exec_lo, s14
	s_cbranch_execz .LBB1_154
; %bb.145:                              ;   in Loop: Header=BB1_29 Depth=1
	s_mov_b32 s15, exec_lo
	v_cmpx_eq_u32_e32 22, v0
	s_cbranch_execz .LBB1_153
; %bb.146:                              ;   in Loop: Header=BB1_29 Depth=1
	v_mov_b32_e32 v0, v71
	s_and_saveexec_b32 s8, s16
	s_cbranch_execz .LBB1_152
; %bb.147:                              ;   in Loop: Header=BB1_29 Depth=1
	v_mov_b32_e32 v1, v72
	v_mov_b32_e32 v0, v75
	s_and_saveexec_b32 s18, s0
	s_cbranch_execz .LBB1_151
; %bb.148:                              ;   in Loop: Header=BB1_29 Depth=1
	v_mov_b32_e32 v1, v72
	v_mov_b32_e32 v0, v75
	s_mov_b32 s19, 0
.LBB1_149:                              ;   Parent Loop BB1_29 Depth=1
                                        ; =>  This Inner Loop Header: Depth=2
	v_mul_f32_e32 v10, v76, v1
	v_rndne_f32_e32 v10, v10
	v_fma_f32 v1, -v10, v74, v1
	v_add_f32_e32 v10, v74, v1
	v_cmp_gt_f32_e32 vcc_lo, 0, v1
	v_cndmask_b32_e32 v1, v1, v10, vcc_lo
	v_cmp_gt_u32_e32 vcc_lo, 25, v0
	v_add_nc_u32_e32 v0, -12, v0
	v_ldexp_f32 v1, v1, 12
	s_or_b32 s19, vcc_lo, s19
	s_andn2_b32 exec_lo, exec_lo, s19
	s_cbranch_execnz .LBB1_149
; %bb.150:                              ;   in Loop: Header=BB1_29 Depth=1
	s_or_b32 exec_lo, exec_lo, s19
.LBB1_151:                              ;   in Loop: Header=BB1_29 Depth=1
	s_or_b32 exec_lo, exec_lo, s18
	v_add_nc_u32_e32 v0, -11, v0
	v_ldexp_f32 v0, v1, v0
	v_mul_f32_e32 v1, v76, v0
	v_rndne_f32_e32 v1, v1
	v_fma_f32 v0, -v1, v74, v0
	v_add_f32_e32 v1, v74, v0
	v_cmp_gt_f32_e32 vcc_lo, 0, v0
	v_cndmask_b32_e32 v0, v0, v1, vcc_lo
	v_ldexp_f32 v0, v0, v73
	v_xor_b32_e32 v0, v77, v0
.LBB1_152:                              ;   in Loop: Header=BB1_29 Depth=1
	s_or_b32 exec_lo, exec_lo, s8
	v_cndmask_b32_e64 v0, v0, 0x7fc00000, s1
	v_cndmask_b32_e64 v1, 0, 1, s3
	;; [unrolled: 1-line block ×3, first 2 shown]
	v_cmp_gt_f32_e32 vcc_lo, v0, v78
	v_cndmask_b32_e64 v0, 0, 1, s4
	v_cndmask_b32_e32 v105, v93, v98, vcc_lo
	v_cndmask_b32_e32 v10, v94, v99, vcc_lo
	;; [unrolled: 1-line block ×6, first 2 shown]
	v_cmp_eq_u32_e64 s8, 0, v105
	v_cndmask_b32_e32 v109, v80, v81, vcc_lo
	v_xor_b32_e32 v10, v10, v108
	v_and_b32_e32 v0, 1, v0
	v_cndmask_b32_e64 v1, v106, v107, s8
	v_cmp_eq_u32_e64 s8, 1, v0
	v_xor3_b32 v1, v10, v109, v1
	v_cndmask_b32_e64 v0, 0x7fc00000, v1, s8
	v_cndmask_b32_e32 v1, v95, v100, vcc_lo
	v_mul_f32_e32 v106, v20, v0
	v_mul_f32_e32 v105, v20, v1
.LBB1_153:                              ;   in Loop: Header=BB1_29 Depth=1
	s_or_b32 exec_lo, exec_lo, s15
	v_mov_b32_e32 v1, v106
	v_mov_b32_e32 v10, v105
.LBB1_154:                              ;   in Loop: Header=BB1_29 Depth=1
	s_or_b32 exec_lo, exec_lo, s14
	v_mov_b32_e32 v106, v1
	v_mov_b32_e32 v105, v10
.LBB1_155:                              ;   in Loop: Header=BB1_29 Depth=1
	s_or_b32 exec_lo, exec_lo, s9
                                        ; implicit-def: $vgpr0
.LBB1_156:                              ;   in Loop: Header=BB1_29 Depth=1
	s_andn2_saveexec_b32 s8, s13
	s_cbranch_execz .LBB1_174
; %bb.157:                              ;   in Loop: Header=BB1_29 Depth=1
	s_mov_b32 s9, exec_lo
                                        ; implicit-def: $vgpr106
                                        ; implicit-def: $vgpr105
	v_cmpx_lt_i32_e32 19, v0
	s_xor_b32 s9, exec_lo, s9
	s_cbranch_execz .LBB1_169
; %bb.158:                              ;   in Loop: Header=BB1_29 Depth=1
	s_mov_b32 s13, exec_lo
                                        ; implicit-def: $vgpr106
                                        ; implicit-def: $vgpr105
	v_cmpx_lt_i32_e32 20, v0
	s_xor_b32 s13, exec_lo, s13
	s_cbranch_execz .LBB1_166
; %bb.159:                              ;   in Loop: Header=BB1_29 Depth=1
	v_mov_b32_e32 v0, v83
	s_and_saveexec_b32 s14, s17
	s_cbranch_execz .LBB1_165
; %bb.160:                              ;   in Loop: Header=BB1_29 Depth=1
	v_mov_b32_e32 v1, v84
	v_mov_b32_e32 v0, v87
	s_and_saveexec_b32 s15, s5
	s_cbranch_execz .LBB1_164
; %bb.161:                              ;   in Loop: Header=BB1_29 Depth=1
	v_mov_b32_e32 v1, v84
	v_mov_b32_e32 v0, v87
	s_mov_b32 s18, 0
.LBB1_162:                              ;   Parent Loop BB1_29 Depth=1
                                        ; =>  This Inner Loop Header: Depth=2
	v_mul_f32_e32 v10, v88, v1
	v_rndne_f32_e32 v10, v10
	v_fma_f32 v1, -v10, v86, v1
	v_add_f32_e32 v10, v86, v1
	v_cmp_gt_f32_e32 vcc_lo, 0, v1
	v_cndmask_b32_e32 v1, v1, v10, vcc_lo
	v_cmp_gt_u32_e32 vcc_lo, 25, v0
	v_add_nc_u32_e32 v0, -12, v0
	v_ldexp_f32 v1, v1, 12
	s_or_b32 s18, vcc_lo, s18
	s_andn2_b32 exec_lo, exec_lo, s18
	s_cbranch_execnz .LBB1_162
; %bb.163:                              ;   in Loop: Header=BB1_29 Depth=1
	s_or_b32 exec_lo, exec_lo, s18
.LBB1_164:                              ;   in Loop: Header=BB1_29 Depth=1
	s_or_b32 exec_lo, exec_lo, s15
	v_add_nc_u32_e32 v0, -11, v0
	v_ldexp_f32 v0, v1, v0
	v_mul_f32_e32 v1, v88, v0
	v_rndne_f32_e32 v1, v1
	v_fma_f32 v0, -v1, v86, v0
	v_add_f32_e32 v1, v86, v0
	v_cmp_gt_f32_e32 vcc_lo, 0, v0
	v_cndmask_b32_e32 v0, v0, v1, vcc_lo
	v_ldexp_f32 v0, v0, v85
	v_xor_b32_e32 v0, v89, v0
.LBB1_165:                              ;   in Loop: Header=BB1_29 Depth=1
	s_or_b32 exec_lo, exec_lo, s14
	v_cndmask_b32_e64 v0, v0, 0x7fc00000, s6
	v_cndmask_b32_e64 v0, 0x7fc00000, v0, s7
	v_sub_f32_e32 v0, v0, v82
	v_add_f32_e32 v0, v90, v0
	v_mul_f32_e32 v105, v47, v0
	v_mul_f32_e32 v106, v48, v0
.LBB1_166:                              ;   in Loop: Header=BB1_29 Depth=1
	s_andn2_saveexec_b32 s13, s13
; %bb.167:                              ;   in Loop: Header=BB1_29 Depth=1
	v_mov_b32_e32 v106, v50
	v_mov_b32_e32 v105, v49
; %bb.168:                              ;   in Loop: Header=BB1_29 Depth=1
	s_or_b32 exec_lo, exec_lo, s13
                                        ; implicit-def: $vgpr0
.LBB1_169:                              ;   in Loop: Header=BB1_29 Depth=1
	s_andn2_saveexec_b32 s9, s9
	s_cbranch_execz .LBB1_173
; %bb.170:                              ;   in Loop: Header=BB1_29 Depth=1
	s_mov_b32 s13, exec_lo
	v_cmpx_lt_i32_e32 18, v0
	s_xor_b32 s13, exec_lo, s13
	s_or_saveexec_b32 s13, s13
	v_mov_b32_e32 v106, v52
	v_mov_b32_e32 v105, v51
	s_xor_b32 exec_lo, exec_lo, s13
; %bb.171:                              ;   in Loop: Header=BB1_29 Depth=1
	v_mov_b32_e32 v106, v54
	v_mov_b32_e32 v105, v53
; %bb.172:                              ;   in Loop: Header=BB1_29 Depth=1
	s_or_b32 exec_lo, exec_lo, s13
.LBB1_173:                              ;   in Loop: Header=BB1_29 Depth=1
	s_or_b32 exec_lo, exec_lo, s9
.LBB1_174:                              ;   in Loop: Header=BB1_29 Depth=1
	s_or_b32 exec_lo, exec_lo, s8
.LBB1_175:                              ;   in Loop: Header=BB1_29 Depth=1
	s_or_b32 exec_lo, exec_lo, s12
                                        ; implicit-def: $vgpr0
.LBB1_176:                              ;   in Loop: Header=BB1_29 Depth=1
	s_andn2_saveexec_b32 s11, s11
	s_cbranch_execz .LBB1_27
; %bb.177:                              ;   in Loop: Header=BB1_29 Depth=1
                                        ; implicit-def: $vgpr1
                                        ; implicit-def: $vgpr10
	s_mov_b32 s8, exec_lo
	v_cmpx_lt_i32_e32 8, v0
	s_xor_b32 s12, exec_lo, s8
	s_cbranch_execz .LBB1_221
; %bb.178:                              ;   in Loop: Header=BB1_29 Depth=1
                                        ; implicit-def: $vgpr1
                                        ; implicit-def: $vgpr10
	s_mov_b32 s8, exec_lo
	v_cmpx_lt_i32_e32 12, v0
	s_xor_b32 s13, exec_lo, s8
	s_cbranch_execz .LBB1_210
; %bb.179:                              ;   in Loop: Header=BB1_29 Depth=1
	s_mov_b32 s8, exec_lo
                                        ; implicit-def: $vgpr1
                                        ; implicit-def: $vgpr10
	v_cmpx_lt_i32_e32 14, v0
	s_xor_b32 s8, exec_lo, s8
	s_cbranch_execz .LBB1_187
; %bb.180:                              ;   in Loop: Header=BB1_29 Depth=1
	s_mov_b32 s9, exec_lo
                                        ; implicit-def: $vgpr1
                                        ; implicit-def: $vgpr10
	v_cmpx_lt_i32_e32 15, v0
	s_xor_b32 s9, exec_lo, s9
	s_cbranch_execz .LBB1_184
; %bb.181:                              ;   in Loop: Header=BB1_29 Depth=1
	s_mov_b32 s14, exec_lo
	v_cmpx_lt_i32_e32 16, v0
	s_xor_b32 s14, exec_lo, s14
	s_or_saveexec_b32 s14, s14
	v_mov_b32_e32 v1, v91
	v_mov_b32_e32 v10, v2
	s_xor_b32 exec_lo, exec_lo, s14
; %bb.182:                              ;   in Loop: Header=BB1_29 Depth=1
	v_mov_b32_e32 v1, v29
	v_mov_b32_e32 v10, v30
; %bb.183:                              ;   in Loop: Header=BB1_29 Depth=1
	s_or_b32 exec_lo, exec_lo, s14
.LBB1_184:                              ;   in Loop: Header=BB1_29 Depth=1
	s_andn2_saveexec_b32 s9, s9
; %bb.185:                              ;   in Loop: Header=BB1_29 Depth=1
	v_mov_b32_e32 v1, v103
	v_mov_b32_e32 v10, v101
; %bb.186:                              ;   in Loop: Header=BB1_29 Depth=1
	s_or_b32 exec_lo, exec_lo, s9
                                        ; implicit-def: $vgpr0
.LBB1_187:                              ;   in Loop: Header=BB1_29 Depth=1
	s_andn2_saveexec_b32 s14, s8
	s_cbranch_execz .LBB1_209
; %bb.188:                              ;   in Loop: Header=BB1_29 Depth=1
	s_mov_b32 s8, exec_lo
                                        ; implicit-def: $vgpr1
                                        ; implicit-def: $vgpr10
	v_cmpx_lt_i32_e32 13, v0
	s_xor_b32 s8, exec_lo, s8
	s_cbranch_execz .LBB1_198
; %bb.189:                              ;   in Loop: Header=BB1_29 Depth=1
	s_mov_b32 s9, exec_lo
                                        ; implicit-def: $vgpr1
	v_cmpx_lt_i32_e32 1, v31
	s_xor_b32 s9, exec_lo, s9
	s_cbranch_execz .LBB1_193
; %bb.190:                              ;   in Loop: Header=BB1_29 Depth=1
	v_mov_b32_e32 v1, v3
	s_mov_b32 s15, exec_lo
	v_cmpx_gt_i32_e32 3, v31
; %bb.191:                              ;   in Loop: Header=BB1_29 Depth=1
	v_mov_b32_e32 v1, v33
; %bb.192:                              ;   in Loop: Header=BB1_29 Depth=1
	s_or_b32 exec_lo, exec_lo, s15
.LBB1_193:                              ;   in Loop: Header=BB1_29 Depth=1
	s_or_saveexec_b32 s9, s9
	v_mov_b32_e32 v10, v19
	s_xor_b32 exec_lo, exec_lo, s9
	s_cbranch_execz .LBB1_197
; %bb.194:                              ;   in Loop: Header=BB1_29 Depth=1
	s_mov_b32 s15, exec_lo
	v_cmpx_ne_u32_e32 1, v31
	s_xor_b32 s15, exec_lo, s15
	s_or_saveexec_b32 s15, s15
	v_mov_b32_e32 v1, v33
	s_xor_b32 exec_lo, exec_lo, s15
; %bb.195:                              ;   in Loop: Header=BB1_29 Depth=1
	v_mov_b32_e32 v1, v3
; %bb.196:                              ;   in Loop: Header=BB1_29 Depth=1
	s_or_b32 exec_lo, exec_lo, s15
	v_mov_b32_e32 v10, v32
.LBB1_197:                              ;   in Loop: Header=BB1_29 Depth=1
	s_or_b32 exec_lo, exec_lo, s9
.LBB1_198:                              ;   in Loop: Header=BB1_29 Depth=1
	s_andn2_saveexec_b32 s15, s8
	s_cbranch_execz .LBB1_208
; %bb.199:                              ;   in Loop: Header=BB1_29 Depth=1
	global_load_dword v0, v[12:13], off
                                        ; implicit-def: $vgpr106
                                        ; implicit-def: $vgpr105
	s_waitcnt vmcnt(0)
	v_cmp_lt_f32_e32 vcc_lo, 0.5, v0
	v_cndmask_b32_e64 v0, 0x40490fdb, 0, vcc_lo
	v_add_f32_e32 v0, v35, v0
	v_and_b32_e32 v1, 0x7fffffff, v0
	v_cmp_ngt_f32_e64 s18, 0x48000000, |v0|
	v_lshrrev_b32_e32 v10, 23, v1
	v_and_or_b32 v107, v1, s33, 0x800000
	v_add_nc_u32_e32 v108, 0xffffff88, v10
	s_and_saveexec_b32 s8, s18
	s_xor_b32 s19, exec_lo, s8
	s_cbranch_execz .LBB1_201
; %bb.200:                              ;   in Loop: Header=BB1_29 Depth=1
	v_mad_u64_u32 v[105:106], null, 0xfe5163ab, v107, 0
	v_cmp_lt_u32_e32 vcc_lo, 63, v108
	v_mov_b32_e32 v10, v106
	v_cndmask_b32_e64 v106, 0, 0xffffffc0, vcc_lo
	v_mad_u64_u32 v[109:110], null, 0x3c439041, v107, v[10:11]
	v_add_nc_u32_e32 v106, v106, v108
	v_cmp_lt_u32_e64 s8, 31, v106
	v_mov_b32_e32 v10, v110
	v_cndmask_b32_e64 v115, 0, 0xffffffe0, s8
	v_mad_u64_u32 v[110:111], null, 0xdb629599, v107, v[10:11]
	v_add_nc_u32_e32 v106, v115, v106
	v_mov_b32_e32 v10, v111
	v_cmp_lt_u32_e64 s9, 31, v106
	v_cndmask_b32_e32 v105, v110, v105, vcc_lo
	v_mad_u64_u32 v[111:112], null, 0xf534ddc0, v107, v[10:11]
	v_mov_b32_e32 v10, v112
	v_mad_u64_u32 v[112:113], null, 0xfc2757d1, v107, v[10:11]
	v_mov_b32_e32 v10, v113
	;; [unrolled: 2-line block ×3, first 2 shown]
	v_cndmask_b32_e32 v116, v113, v111, vcc_lo
	v_mad_u64_u32 v[114:115], null, 0xa2f9836e, v107, v[10:11]
	v_cndmask_b32_e64 v10, 0, 0xffffffe0, s9
	v_add_nc_u32_e32 v10, v10, v106
	v_cndmask_b32_e32 v114, v114, v112, vcc_lo
	v_cndmask_b32_e32 v113, v115, v113, vcc_lo
	;; [unrolled: 1-line block ×4, first 2 shown]
	v_cmp_eq_u32_e32 vcc_lo, 0, v10
	v_cndmask_b32_e64 v109, v114, v116, s8
	v_cndmask_b32_e64 v111, v113, v114, s8
	;; [unrolled: 1-line block ×3, first 2 shown]
	v_sub_nc_u32_e32 v114, 32, v10
	v_cndmask_b32_e64 v112, v112, v106, s8
	v_cndmask_b32_e64 v105, v106, v105, s8
	;; [unrolled: 1-line block ×6, first 2 shown]
	v_alignbit_b32 v115, v111, v109, v114
	v_alignbit_b32 v110, v109, v113, v114
	;; [unrolled: 1-line block ×3, first 2 shown]
	v_cndmask_b32_e32 v10, v115, v111, vcc_lo
	v_cndmask_b32_e32 v106, v110, v109, vcc_lo
	;; [unrolled: 1-line block ×3, first 2 shown]
	v_bfe_u32 v109, v10, 29, 1
	v_alignbit_b32 v110, v10, v106, 30
	v_alignbit_b32 v106, v106, v112, 30
	;; [unrolled: 1-line block ×3, first 2 shown]
	v_sub_nc_u32_e32 v111, 0, v109
	v_xor_b32_e32 v110, v110, v111
	v_xor_b32_e32 v106, v106, v111
	;; [unrolled: 1-line block ×3, first 2 shown]
	v_lshrrev_b32_e32 v111, 29, v10
	v_lshrrev_b32_e32 v10, 30, v10
	v_ffbh_u32_e32 v113, v110
	v_min_u32_e32 v113, 32, v113
	v_sub_nc_u32_e32 v112, 31, v113
	v_lshlrev_b32_e32 v114, 23, v113
	v_alignbit_b32 v110, v110, v106, v112
	v_alignbit_b32 v105, v106, v105, v112
	v_lshlrev_b32_e32 v106, 31, v111
	v_alignbit_b32 v111, v110, v105, 9
	v_or_b32_e32 v112, 0.5, v106
	v_lshrrev_b32_e32 v110, 9, v110
	v_or_b32_e32 v106, 0x33000000, v106
	v_ffbh_u32_e32 v115, v111
	v_sub_nc_u32_e32 v112, v112, v114
	v_min_u32_e32 v114, 32, v115
	v_or_b32_e32 v110, v110, v112
	v_not_b32_e32 v112, v114
	v_mul_f32_e32 v115, 0x3fc90fda, v110
	v_add_lshl_u32 v113, v114, v113, 23
	v_alignbit_b32 v105, v111, v105, v112
	v_fma_f32 v111, 0x3fc90fda, v110, -v115
	v_sub_nc_u32_e32 v106, v106, v113
	v_lshrrev_b32_e32 v105, 9, v105
	v_fmac_f32_e32 v111, 0x33a22168, v110
	v_or_b32_e32 v105, v106, v105
	v_add_nc_u32_e32 v106, v109, v10
	v_fmac_f32_e32 v111, 0x3fc90fda, v105
	v_add_f32_e32 v105, v115, v111
.LBB1_201:                              ;   in Loop: Header=BB1_29 Depth=1
	s_or_saveexec_b32 s8, s19
	v_mul_f32_e64 v10, 0x3f22f983, |v0|
	v_rndne_f32_e32 v110, v10
	s_xor_b32 exec_lo, exec_lo, s8
; %bb.202:                              ;   in Loop: Header=BB1_29 Depth=1
	v_fma_f32 v105, 0xbfc90fda, v110, |v0|
	v_cvt_i32_f32_e32 v106, v110
	v_fmac_f32_e32 v105, 0xb3a22168, v110
	v_fmac_f32_e32 v105, 0xa7c234c4, v110
; %bb.203:                              ;   in Loop: Header=BB1_29 Depth=1
	s_or_b32 exec_lo, exec_lo, s8
                                        ; implicit-def: $vgpr109
                                        ; implicit-def: $vgpr10
	s_and_saveexec_b32 s8, s18
	s_xor_b32 s18, exec_lo, s8
	s_cbranch_execz .LBB1_205
; %bb.204:                              ;   in Loop: Header=BB1_29 Depth=1
	v_mad_u64_u32 v[109:110], null, 0xfe5163ab, v107, 0
	v_cmp_lt_u32_e32 vcc_lo, 63, v108
	v_cndmask_b32_e64 v115, 0, 0xffffffc0, vcc_lo
	v_mov_b32_e32 v10, v110
	v_add_nc_u32_e32 v108, v115, v108
	v_mad_u64_u32 v[110:111], null, 0x3c439041, v107, v[10:11]
	v_cmp_lt_u32_e64 s8, 31, v108
	v_mov_b32_e32 v10, v111
	v_cndmask_b32_e64 v116, 0, 0xffffffe0, s8
	v_mad_u64_u32 v[111:112], null, 0xdb629599, v107, v[10:11]
	v_mov_b32_e32 v10, v112
	v_cndmask_b32_e32 v109, v111, v109, vcc_lo
	v_mad_u64_u32 v[112:113], null, 0xf534ddc0, v107, v[10:11]
	v_mov_b32_e32 v10, v113
	v_cndmask_b32_e32 v110, v112, v110, vcc_lo
	v_mad_u64_u32 v[113:114], null, 0xfc2757d1, v107, v[10:11]
	v_mov_b32_e32 v10, v114
	v_mad_u64_u32 v[114:115], null, 0x4e441529, v107, v[10:11]
	v_mov_b32_e32 v10, v115
	v_add_nc_u32_e32 v115, v116, v108
	v_cndmask_b32_e32 v116, v114, v112, vcc_lo
	v_mad_u64_u32 v[107:108], null, 0xa2f9836e, v107, v[10:11]
	v_cmp_lt_u32_e64 s9, 31, v115
	v_cndmask_b32_e64 v10, 0, 0xffffffe0, s9
	v_cndmask_b32_e32 v107, v107, v113, vcc_lo
	v_cndmask_b32_e32 v108, v108, v114, vcc_lo
	;; [unrolled: 1-line block ×3, first 2 shown]
	v_add_nc_u32_e32 v10, v10, v115
	v_cndmask_b32_e64 v112, v107, v116, s8
	v_cndmask_b32_e64 v107, v108, v107, s8
	;; [unrolled: 1-line block ×4, first 2 shown]
	v_sub_nc_u32_e32 v114, 32, v10
	v_cmp_eq_u32_e32 vcc_lo, 0, v10
	v_cndmask_b32_e64 v107, v107, v112, s9
	v_cndmask_b32_e64 v112, v112, v108, s9
	;; [unrolled: 1-line block ×3, first 2 shown]
	v_alignbit_b32 v115, v107, v112, v114
	v_alignbit_b32 v111, v112, v108, v114
	v_cndmask_b32_e32 v10, v115, v107, vcc_lo
	v_cndmask_b32_e64 v107, v110, v109, s8
	v_cndmask_b32_e32 v109, v111, v112, vcc_lo
	v_bfe_u32 v110, v10, 29, 1
	v_cndmask_b32_e64 v107, v113, v107, s9
	v_alignbit_b32 v111, v10, v109, 30
	v_sub_nc_u32_e32 v112, 0, v110
	v_alignbit_b32 v113, v108, v107, v114
	v_xor_b32_e32 v111, v111, v112
	v_cndmask_b32_e32 v108, v113, v108, vcc_lo
	v_ffbh_u32_e32 v113, v111
	v_alignbit_b32 v109, v109, v108, 30
	v_alignbit_b32 v107, v108, v107, 30
	v_min_u32_e32 v113, 32, v113
	v_xor_b32_e32 v108, v109, v112
	v_xor_b32_e32 v107, v107, v112
	v_lshrrev_b32_e32 v112, 29, v10
	v_sub_nc_u32_e32 v109, 31, v113
	v_lshlrev_b32_e32 v114, 23, v113
	v_alignbit_b32 v111, v111, v108, v109
	v_alignbit_b32 v107, v108, v107, v109
	v_lshlrev_b32_e32 v108, 31, v112
	v_alignbit_b32 v109, v111, v107, 9
	v_or_b32_e32 v112, 0.5, v108
	v_lshrrev_b32_e32 v111, 9, v111
	v_or_b32_e32 v108, 0x33000000, v108
	v_ffbh_u32_e32 v115, v109
	v_sub_nc_u32_e32 v112, v112, v114
	v_min_u32_e32 v114, 32, v115
	v_or_b32_e32 v111, v111, v112
	v_not_b32_e32 v112, v114
	v_mul_f32_e32 v115, 0x3fc90fda, v111
	v_add_lshl_u32 v113, v114, v113, 23
	v_alignbit_b32 v107, v109, v107, v112
	v_fma_f32 v109, 0x3fc90fda, v111, -v115
	v_sub_nc_u32_e32 v108, v108, v113
	v_lshrrev_b32_e32 v107, 9, v107
	v_fmac_f32_e32 v109, 0x33a22168, v111
	v_or_b32_e32 v107, v108, v107
	v_fmac_f32_e32 v109, 0x3fc90fda, v107
	v_lshrrev_b32_e32 v107, 30, v10
	v_add_f32_e32 v10, v115, v109
	v_add_nc_u32_e32 v109, v110, v107
                                        ; implicit-def: $vgpr110
	s_andn2_saveexec_b32 s8, s18
	s_cbranch_execnz .LBB1_206
	s_branch .LBB1_207
.LBB1_205:                              ;   in Loop: Header=BB1_29 Depth=1
	s_andn2_saveexec_b32 s8, s18
.LBB1_206:                              ;   in Loop: Header=BB1_29 Depth=1
	v_fma_f32 v10, 0xbfc90fda, v110, |v0|
	v_cvt_i32_f32_e32 v109, v110
	v_fmac_f32_e32 v10, 0xb3a22168, v110
	v_fmac_f32_e32 v10, 0xa7c234c4, v110
.LBB1_207:                              ;   in Loop: Header=BB1_29 Depth=1
	s_or_b32 exec_lo, exec_lo, s8
	v_mul_f32_e32 v107, v105, v105
	v_mul_f32_e32 v110, v10, v10
	v_and_b32_e32 v108, 1, v106
	v_and_b32_e32 v113, 1, v109
	v_lshlrev_b32_e32 v106, 30, v106
	v_fmaak_f32 v111, s27, v107, 0x3c0881c4
	v_fmaak_f32 v112, s34, v107, 0xbab64f3b
	;; [unrolled: 1-line block ×4, first 2 shown]
	v_cmp_eq_u32_e32 vcc_lo, 0, v108
	v_fmaak_f32 v111, v107, v111, 0xbe2aaa9d
	v_fmaak_f32 v112, v107, v112, 0x3d2aabf7
	;; [unrolled: 1-line block ×4, first 2 shown]
	v_lshlrev_b32_e32 v109, 30, v109
	v_mul_f32_e32 v111, v107, v111
	v_fmaak_f32 v112, v107, v112, 0xbf000004
	v_mul_f32_e32 v114, v110, v114
	v_fmaak_f32 v115, v110, v115, 0xbf000004
	v_and_b32_e32 v106, 0x80000000, v106
	v_fmac_f32_e32 v105, v105, v111
	v_fma_f32 v107, v107, v112, 1.0
	v_fmac_f32_e32 v10, v10, v114
	v_fma_f32 v110, v110, v115, 1.0
	v_and_b32_e32 v109, 0x80000000, v109
	v_xor_b32_e32 v1, v1, v0
	v_cndmask_b32_e64 v105, -v105, v107, vcc_lo
	v_cmp_eq_u32_e32 vcc_lo, 0, v113
	v_xor_b32_e32 v105, v106, v105
	v_cndmask_b32_e32 v10, v110, v10, vcc_lo
	v_cmp_class_f32_e64 vcc_lo, v0, 0x1f8
	v_xor3_b32 v1, v1, v109, v10
	v_cndmask_b32_e32 v0, 0x7fc00000, v105, vcc_lo
	v_cndmask_b32_e32 v1, 0x7fc00000, v1, vcc_lo
	v_mul_f32_e32 v10, v34, v0
	v_mul_f32_e32 v1, v34, v1
.LBB1_208:                              ;   in Loop: Header=BB1_29 Depth=1
	s_or_b32 exec_lo, exec_lo, s15
.LBB1_209:                              ;   in Loop: Header=BB1_29 Depth=1
	s_or_b32 exec_lo, exec_lo, s14
                                        ; implicit-def: $vgpr0
.LBB1_210:                              ;   in Loop: Header=BB1_29 Depth=1
	s_andn2_saveexec_b32 s8, s13
	s_cbranch_execz .LBB1_220
; %bb.211:                              ;   in Loop: Header=BB1_29 Depth=1
	s_mov_b32 s9, exec_lo
                                        ; implicit-def: $vgpr1
                                        ; implicit-def: $vgpr10
	v_cmpx_lt_i32_e32 10, v0
	s_xor_b32 s9, exec_lo, s9
	s_cbranch_execz .LBB1_215
; %bb.212:                              ;   in Loop: Header=BB1_29 Depth=1
	s_mov_b32 s13, exec_lo
	v_cmpx_lt_i32_e32 11, v0
	s_xor_b32 s13, exec_lo, s13
	s_or_saveexec_b32 s13, s13
	v_mov_b32_e32 v1, v56
	v_mov_b32_e32 v10, v55
	s_xor_b32 exec_lo, exec_lo, s13
; %bb.213:                              ;   in Loop: Header=BB1_29 Depth=1
	v_mov_b32_e32 v1, v58
	v_mov_b32_e32 v10, v57
; %bb.214:                              ;   in Loop: Header=BB1_29 Depth=1
	s_or_b32 exec_lo, exec_lo, s13
                                        ; implicit-def: $vgpr0
.LBB1_215:                              ;   in Loop: Header=BB1_29 Depth=1
	s_andn2_saveexec_b32 s9, s9
	s_cbranch_execz .LBB1_219
; %bb.216:                              ;   in Loop: Header=BB1_29 Depth=1
	s_mov_b32 s13, exec_lo
	v_cmpx_lt_i32_e32 9, v0
	s_xor_b32 s13, exec_lo, s13
	s_or_saveexec_b32 s13, s13
	v_mov_b32_e32 v1, v60
	v_mov_b32_e32 v10, v59
	s_xor_b32 exec_lo, exec_lo, s13
; %bb.217:                              ;   in Loop: Header=BB1_29 Depth=1
	v_mov_b32_e32 v1, v62
	v_mov_b32_e32 v10, v61
; %bb.218:                              ;   in Loop: Header=BB1_29 Depth=1
	s_or_b32 exec_lo, exec_lo, s13
.LBB1_219:                              ;   in Loop: Header=BB1_29 Depth=1
	s_or_b32 exec_lo, exec_lo, s9
.LBB1_220:                              ;   in Loop: Header=BB1_29 Depth=1
	s_or_b32 exec_lo, exec_lo, s8
                                        ; implicit-def: $vgpr0
                                        ; implicit-def: $vgpr106
                                        ; implicit-def: $vgpr105
.LBB1_221:                              ;   in Loop: Header=BB1_29 Depth=1
	s_andn2_saveexec_b32 s8, s12
	s_cbranch_execz .LBB1_26
; %bb.222:                              ;   in Loop: Header=BB1_29 Depth=1
	s_mov_b32 s9, exec_lo
                                        ; implicit-def: $vgpr1
                                        ; implicit-def: $vgpr10
	v_cmpx_lt_i32_e32 3, v0
	s_xor_b32 s9, exec_lo, s9
	s_cbranch_execz .LBB1_236
; %bb.223:                              ;   in Loop: Header=BB1_29 Depth=1
	s_mov_b32 s12, exec_lo
                                        ; implicit-def: $vgpr1
                                        ; implicit-def: $vgpr10
	v_cmpx_lt_i32_e32 5, v0
	s_xor_b32 s12, exec_lo, s12
	;; [unrolled: 7-line block ×3, first 2 shown]
	s_cbranch_execz .LBB1_228
; %bb.225:                              ;   in Loop: Header=BB1_29 Depth=1
	s_mov_b32 s14, exec_lo
	v_cmpx_lt_i32_e32 7, v0
	s_xor_b32 s14, exec_lo, s14
	s_or_saveexec_b32 s14, s14
	v_mov_b32_e32 v1, v64
	v_mov_b32_e32 v10, v63
	s_xor_b32 exec_lo, exec_lo, s14
; %bb.226:                              ;   in Loop: Header=BB1_29 Depth=1
	v_mov_b32_e32 v1, v66
	v_mov_b32_e32 v10, v65
; %bb.227:                              ;   in Loop: Header=BB1_29 Depth=1
	s_or_b32 exec_lo, exec_lo, s14
.LBB1_228:                              ;   in Loop: Header=BB1_29 Depth=1
	s_andn2_saveexec_b32 s13, s13
; %bb.229:                              ;   in Loop: Header=BB1_29 Depth=1
	v_mov_b32_e32 v1, v68
	v_mov_b32_e32 v10, v67
; %bb.230:                              ;   in Loop: Header=BB1_29 Depth=1
	s_or_b32 exec_lo, exec_lo, s13
                                        ; implicit-def: $vgpr0
.LBB1_231:                              ;   in Loop: Header=BB1_29 Depth=1
	s_andn2_saveexec_b32 s12, s12
	s_cbranch_execz .LBB1_235
; %bb.232:                              ;   in Loop: Header=BB1_29 Depth=1
	s_mov_b32 s13, exec_lo
	v_cmpx_lt_i32_e32 4, v0
	s_xor_b32 s13, exec_lo, s13
	s_or_saveexec_b32 s13, s13
	v_mov_b32_e32 v1, v37
	v_mov_b32_e32 v10, v36
	s_xor_b32 exec_lo, exec_lo, s13
; %bb.233:                              ;   in Loop: Header=BB1_29 Depth=1
	v_mov_b32_e32 v1, v39
	v_mov_b32_e32 v10, v38
; %bb.234:                              ;   in Loop: Header=BB1_29 Depth=1
	s_or_b32 exec_lo, exec_lo, s13
.LBB1_235:                              ;   in Loop: Header=BB1_29 Depth=1
	s_or_b32 exec_lo, exec_lo, s12
                                        ; implicit-def: $vgpr0
                                        ; implicit-def: $vgpr106
                                        ; implicit-def: $vgpr105
.LBB1_236:                              ;   in Loop: Header=BB1_29 Depth=1
	s_andn2_saveexec_b32 s9, s9
	s_cbranch_execz .LBB1_25
; %bb.237:                              ;   in Loop: Header=BB1_29 Depth=1
	s_mov_b32 s12, exec_lo
                                        ; implicit-def: $vgpr1
                                        ; implicit-def: $vgpr10
	v_cmpx_lt_i32_e32 1, v0
	s_xor_b32 s12, exec_lo, s12
	s_cbranch_execz .LBB1_241
; %bb.238:                              ;   in Loop: Header=BB1_29 Depth=1
	s_mov_b32 s13, exec_lo
	v_cmpx_lt_i32_e32 2, v0
	s_xor_b32 s13, exec_lo, s13
	s_or_saveexec_b32 s13, s13
	v_mov_b32_e32 v1, v70
	v_mov_b32_e32 v10, v69
	s_xor_b32 exec_lo, exec_lo, s13
; %bb.239:                              ;   in Loop: Header=BB1_29 Depth=1
	v_mov_b32_e32 v1, v41
	v_mov_b32_e32 v10, v40
; %bb.240:                              ;   in Loop: Header=BB1_29 Depth=1
	s_or_b32 exec_lo, exec_lo, s13
                                        ; implicit-def: $vgpr106
                                        ; implicit-def: $vgpr105
                                        ; implicit-def: $vgpr0
.LBB1_241:                              ;   in Loop: Header=BB1_29 Depth=1
	s_andn2_saveexec_b32 s12, s12
	s_cbranch_execz .LBB1_24
; %bb.242:                              ;   in Loop: Header=BB1_29 Depth=1
	s_mov_b32 s13, exec_lo
	v_cmpx_lt_i32_e32 0, v0
	s_xor_b32 s13, exec_lo, s13
; %bb.243:                              ;   in Loop: Header=BB1_29 Depth=1
                                        ; implicit-def: $vgpr106
                                        ; implicit-def: $vgpr105
                                        ; implicit-def: $vgpr0
; %bb.244:                              ;   in Loop: Header=BB1_29 Depth=1
	s_or_saveexec_b32 s13, s13
	v_mov_b32_e32 v1, v46
	v_mov_b32_e32 v10, v42
	s_xor_b32 exec_lo, exec_lo, s13
	s_cbranch_execz .LBB1_23
; %bb.245:                              ;   in Loop: Header=BB1_29 Depth=1
	s_mov_b32 s14, exec_lo
	v_cmpx_eq_u32_e32 0, v0
	s_cbranch_execz .LBB1_22
; %bb.246:                              ;   in Loop: Header=BB1_29 Depth=1
	v_mov_b32_e32 v106, v3
	v_mov_b32_e32 v105, v19
	s_branch .LBB1_22
.LBB1_247:
	v_lshlrev_b64 v[0:1], 2, v[8:9]
	s_mov_b32 s0, 0.5
	v_add_co_u32 v9, vcc_lo, s28, v0
	v_add_co_ci_u32_e64 v10, null, s29, v1, vcc_lo
	v_mad_u64_u32 v[11:12], null, v8, 20, v[9:10]
	s_clause 0x2
	global_load_dwordx4 v[0:3], v[11:12], off offset:1360
	global_load_dwordx2 v[11:12], v[11:12], off offset:1376
	global_load_dword v8, v[9:10], off offset:800
	v_cvt_f16_i16_e32 v10, v18
	s_waitcnt vmcnt(2)
	v_mul_f32_e32 v1, v102, v1
	s_waitcnt vmcnt(1)
	v_mul_f32_e32 v9, v102, v11
	v_fmac_f32_e32 v1, v16, v0
	v_fmac_f32_e32 v9, v16, v3
	v_cvt_f32_f16_e32 v0, v10
	v_add_f32_e32 v1, v2, v1
	v_add_f32_e32 v2, v12, v9
	s_waitcnt vmcnt(0)
	v_add_f32_e32 v0, v8, v0
	v_cvt_f16_f32_e32 v1, v1
	v_cvt_f16_f32_e32 v2, v2
	v_fma_mixlo_f16 v0, v0, s0, 0
	v_cvt_i16_f16_e32 v1, v1
	v_cvt_i16_f16_e32 v2, v2
	;; [unrolled: 1-line block ×3, first 2 shown]
	v_perm_b32 v1, v2, v1, 0x5040100
	global_store_short v[4:5], v0, off
	global_store_dword v[6:7], v1, off
	s_endpgm
	.section	.rodata,"a",@progbits
	.p2align	6, 0x0
	.amdhsa_kernel _Z14kernel_iterateP15HIP_vector_typeIsLj2EEPsPKtiPKf14ConstMemParams
		.amdhsa_group_segment_fixed_size 0
		.amdhsa_private_segment_fixed_size 0
		.amdhsa_kernarg_size 2224
		.amdhsa_user_sgpr_count 6
		.amdhsa_user_sgpr_private_segment_buffer 1
		.amdhsa_user_sgpr_dispatch_ptr 0
		.amdhsa_user_sgpr_queue_ptr 0
		.amdhsa_user_sgpr_kernarg_segment_ptr 1
		.amdhsa_user_sgpr_dispatch_id 0
		.amdhsa_user_sgpr_flat_scratch_init 0
		.amdhsa_user_sgpr_private_segment_size 0
		.amdhsa_wavefront_size32 1
		.amdhsa_uses_dynamic_stack 0
		.amdhsa_system_sgpr_private_segment_wavefront_offset 0
		.amdhsa_system_sgpr_workgroup_id_x 1
		.amdhsa_system_sgpr_workgroup_id_y 0
		.amdhsa_system_sgpr_workgroup_id_z 0
		.amdhsa_system_sgpr_workgroup_info 0
		.amdhsa_system_vgpr_workitem_id 0
		.amdhsa_next_free_vgpr 125
		.amdhsa_next_free_sgpr 37
		.amdhsa_reserve_vcc 1
		.amdhsa_reserve_flat_scratch 0
		.amdhsa_float_round_mode_32 0
		.amdhsa_float_round_mode_16_64 0
		.amdhsa_float_denorm_mode_32 3
		.amdhsa_float_denorm_mode_16_64 3
		.amdhsa_dx10_clamp 1
		.amdhsa_ieee_mode 1
		.amdhsa_fp16_overflow 0
		.amdhsa_workgroup_processor_mode 1
		.amdhsa_memory_ordered 1
		.amdhsa_forward_progress 1
		.amdhsa_shared_vgpr_count 0
		.amdhsa_exception_fp_ieee_invalid_op 0
		.amdhsa_exception_fp_denorm_src 0
		.amdhsa_exception_fp_ieee_div_zero 0
		.amdhsa_exception_fp_ieee_overflow 0
		.amdhsa_exception_fp_ieee_underflow 0
		.amdhsa_exception_fp_ieee_inexact 0
		.amdhsa_exception_int_div_zero 0
	.end_amdhsa_kernel
	.text
.Lfunc_end1:
	.size	_Z14kernel_iterateP15HIP_vector_typeIsLj2EEPsPKtiPKf14ConstMemParams, .Lfunc_end1-_Z14kernel_iterateP15HIP_vector_typeIsLj2EEPsPKtiPKf14ConstMemParams
                                        ; -- End function
	.set _Z14kernel_iterateP15HIP_vector_typeIsLj2EEPsPKtiPKf14ConstMemParams.num_vgpr, 125
	.set _Z14kernel_iterateP15HIP_vector_typeIsLj2EEPsPKtiPKf14ConstMemParams.num_agpr, 0
	.set _Z14kernel_iterateP15HIP_vector_typeIsLj2EEPsPKtiPKf14ConstMemParams.numbered_sgpr, 37
	.set _Z14kernel_iterateP15HIP_vector_typeIsLj2EEPsPKtiPKf14ConstMemParams.num_named_barrier, 0
	.set _Z14kernel_iterateP15HIP_vector_typeIsLj2EEPsPKtiPKf14ConstMemParams.private_seg_size, 0
	.set _Z14kernel_iterateP15HIP_vector_typeIsLj2EEPsPKtiPKf14ConstMemParams.uses_vcc, 1
	.set _Z14kernel_iterateP15HIP_vector_typeIsLj2EEPsPKtiPKf14ConstMemParams.uses_flat_scratch, 0
	.set _Z14kernel_iterateP15HIP_vector_typeIsLj2EEPsPKtiPKf14ConstMemParams.has_dyn_sized_stack, 0
	.set _Z14kernel_iterateP15HIP_vector_typeIsLj2EEPsPKtiPKf14ConstMemParams.has_recursion, 0
	.set _Z14kernel_iterateP15HIP_vector_typeIsLj2EEPsPKtiPKf14ConstMemParams.has_indirect_call, 0
	.section	.AMDGPU.csdata,"",@progbits
; Kernel info:
; codeLenInByte = 35628
; TotalNumSgprs: 39
; NumVgprs: 125
; ScratchSize: 0
; MemoryBound: 0
; FloatMode: 240
; IeeeMode: 1
; LDSByteSize: 0 bytes/workgroup (compile time only)
; SGPRBlocks: 0
; VGPRBlocks: 15
; NumSGPRsForWavesPerEU: 39
; NumVGPRsForWavesPerEU: 125
; Occupancy: 8
; WaveLimiterHint : 1
; COMPUTE_PGM_RSRC2:SCRATCH_EN: 0
; COMPUTE_PGM_RSRC2:USER_SGPR: 6
; COMPUTE_PGM_RSRC2:TRAP_HANDLER: 0
; COMPUTE_PGM_RSRC2:TGID_X_EN: 1
; COMPUTE_PGM_RSRC2:TGID_Y_EN: 0
; COMPUTE_PGM_RSRC2:TGID_Z_EN: 0
; COMPUTE_PGM_RSRC2:TIDIG_COMP_CNT: 0
	.text
	.protected	_Z22kernel_generate_pointsP15HIP_vector_typeIfLj3EEPS_IsLj2EEPsPKtiPKf14ConstMemParams ; -- Begin function _Z22kernel_generate_pointsP15HIP_vector_typeIfLj3EEPS_IsLj2EEPsPKtiPKf14ConstMemParams
	.globl	_Z22kernel_generate_pointsP15HIP_vector_typeIfLj3EEPS_IsLj2EEPsPKtiPKf14ConstMemParams
	.p2align	8
	.type	_Z22kernel_generate_pointsP15HIP_vector_typeIfLj3EEPS_IsLj2EEPsPKtiPKf14ConstMemParams,@function
_Z22kernel_generate_pointsP15HIP_vector_typeIfLj3EEPS_IsLj2EEPsPKtiPKf14ConstMemParams: ; @_Z22kernel_generate_pointsP15HIP_vector_typeIfLj3EEPS_IsLj2EEPsPKtiPKf14ConstMemParams
; %bb.0:
	s_mov_b64 s[58:59], s[2:3]
	s_mov_b64 s[56:57], s[0:1]
	s_clause 0x1
	s_load_dword s2, s[4:5], 0x7c4
	s_load_dword s3, s[4:5], 0x790
	s_add_u32 s56, s56, s7
	s_addc_u32 s57, s57, 0
	s_add_u32 s0, s4, 48
	s_addc_u32 s1, s5, 0
	s_clause 0x1
	s_load_dwordx2 s[34:35], s[4:5], 0x760
	s_load_dwordx8 s[36:43], s[4:5], 0x0
	s_mov_b32 s45, 0
	s_mov_b32 s46, 0x3b2d2a58
	;; [unrolled: 1-line block ×9, first 2 shown]
	s_waitcnt lgkmcnt(0)
	s_and_b32 s2, s2, 0xffff
	v_mad_u64_u32 v[4:5], null, s6, s2, v[0:1]
	v_and_b32_e32 v5, 0xffffffe0, v4
	v_mul_hi_i32 v13, 0x55555556, v4
	v_and_b32_e32 v9, 0x3fffff, v4
	v_cmp_gt_i32_e32 vcc_lo, s3, v5
	v_lshlrev_b32_e32 v9, 2, v9
	v_lshrrev_b32_e32 v15, 31, v13
	v_cndmask_b32_e64 v1, 15, 5, vcc_lo
	v_cndmask_b32_e64 v0, 11, 0, vcc_lo
	;; [unrolled: 1-line block ×3, first 2 shown]
	v_add_nc_u32_e32 v13, v13, v15
	v_lshlrev_b32_e32 v2, 2, v1
	v_add_nc_u32_e32 v6, 1, v1
	global_load_dword v2, v2, s[0:1] offset:1848
	s_waitcnt vmcnt(0)
	v_cmp_gt_i32_e32 vcc_lo, v2, v5
	v_cndmask_b32_e32 v0, v6, v0, vcc_lo
	v_cndmask_b32_e32 v1, v3, v1, vcc_lo
	v_add_nc_u16 v2, v0, v1
	v_lshrrev_b16 v2, 1, v2
	v_and_b32_e32 v2, 0xffff, v2
	v_lshlrev_b32_e32 v3, 2, v2
	v_add_nc_u32_e32 v6, 1, v2
	global_load_dword v3, v3, s[0:1] offset:1848
	s_waitcnt vmcnt(0)
	v_cmp_gt_i32_e32 vcc_lo, v3, v5
	v_cndmask_b32_e32 v0, v6, v0, vcc_lo
	v_cndmask_b32_e32 v1, v1, v2, vcc_lo
	v_add_nc_u32_e32 v2, v0, v1
	v_lshrrev_b32_e32 v2, 1, v2
	v_lshlrev_b32_e32 v3, 2, v2
	v_add_nc_u32_e32 v6, 1, v2
	global_load_dword v3, v3, s[0:1] offset:1848
	s_waitcnt vmcnt(0)
	v_cmp_gt_i32_e32 vcc_lo, v3, v5
	v_cndmask_b32_e32 v6, v6, v0, vcc_lo
	v_cndmask_b32_e32 v7, v1, v2, vcc_lo
	v_add_co_u32 v0, s2, v6, v7
	v_add_co_ci_u32_e64 v1, null, 0, 0, s2
	v_lshrrev_b64 v[2:3], 1, v[0:1]
	v_alignbit_b32 v0, v1, v0, 1
	v_lshlrev_b64 v[2:3], 2, v[2:3]
	v_add_nc_u32_e32 v1, 1, v0
	v_add_co_u32 v2, vcc_lo, s0, v2
	v_add_co_ci_u32_e64 v3, null, s1, v3, vcc_lo
	global_load_dword v2, v[2:3], off offset:1848
	v_lshl_add_u32 v10, s34, 7, v4
	s_mov_b32 s34, 0xbc8cedd3
	v_and_b32_e32 v14, 0x3fffff, v10
	v_lshlrev_b32_e32 v15, 2, v14
	s_waitcnt vmcnt(0)
	v_cmp_gt_i32_e32 vcc_lo, v2, v5
	v_cndmask_b32_e32 v1, v1, v6, vcc_lo
	v_cndmask_b32_e32 v0, v7, v0, vcc_lo
	v_mov_b32_e32 v6, 0
	v_add_nc_u32_e32 v0, v1, v0
	v_lshrrev_b32_e32 v5, 1, v0
	v_mad_u64_u32 v[11:12], null, v5, 24, s[0:1]
	s_clause 0x1
	global_load_dwordx4 v[0:3], v[11:12], off offset:880
	global_load_dwordx2 v[7:8], v[11:12], off offset:896
	s_clause 0x1
	s_load_dword s33, s[4:5], 0x20
	s_load_dwordx2 s[0:1], s[4:5], 0x28
	s_waitcnt lgkmcnt(0)
	v_add_co_u32 v9, s2, s0, v9
	v_add_co_u32 v26, s0, s0, v15
	v_add_co_ci_u32_e64 v27, null, s1, 0, s0
	buffer_store_dword v26, off, s[56:59], 0 offset:40 ; 4-byte Folded Spill
	buffer_store_dword v27, off, s[56:59], 0 offset:44 ; 4-byte Folded Spill
	v_add_co_ci_u32_e64 v10, null, s1, 0, s2
	s_waitcnt vmcnt(1)
	v_mul_f32_e32 v16, 0x40490fdb, v2
	v_add_f32_e32 v17, v2, v2
	v_mul_f32_e32 v28, v2, v2
	s_waitcnt vmcnt(0)
	v_mul_f32_e32 v31, v8, v8
	v_mul_f32_e32 v24, v2, v16
	;; [unrolled: 1-line block ×3, first 2 shown]
	v_and_b32_e32 v16, 0xff, v5
	v_lshl_add_u32 v17, v13, 1, v13
	v_lshlrev_b64 v[13:14], 4, v[5:6]
	v_cvt_f64_f32_e64 v[19:20], |v24|
	v_cvt_f64_f32_e64 v[21:22], |v25|
	v_mul_lo_u16 v16, 0xab, v16
	v_sub_nc_u32_e32 v15, v4, v17
	v_cmp_eq_f32_e64 s0, 0, v24
	v_add_co_u32 v13, vcc_lo, v11, v13
	v_add_co_ci_u32_e64 v14, null, v12, v14, vcc_lo
	buffer_store_dword v15, off, s[56:59], 0 offset:48 ; 4-byte Folded Spill
	v_lshrrev_b16 v15, 9, v16
	v_mov_b32_e32 v12, v8
	v_mad_i64_i32 v[17:18], null, 0xffffffdc, v5, v[13:14]
	v_cmp_o_f32_e64 s1, v24, v24
	v_mul_lo_u16 v11, v15, 3
	v_mad_u64_u32 v[15:16], null, v5, 20, 0
	buffer_store_dword v12, off, s[56:59], 0 offset:16 ; 4-byte Folded Spill
	v_mov_b32_e32 v12, v2
	v_sub_nc_u16 v5, v5, v11
	v_frexp_mant_f32_e64 v11, |v25|
	v_cmp_eq_f32_e64 s2, 0, v25
	v_cmp_o_f32_e64 s3, v25, v25
	buffer_store_dword v5, off, s[56:59], 0 offset:52 ; 4-byte Folded Spill
	v_frexp_exp_i32_f64_e32 v5, v[19:20]
	v_ldexp_f32 v35, v11, 1
	v_rcp_f32_e32 v39, v35
	buffer_store_dword v5, off, s[56:59], 0 offset:4 ; 4-byte Folded Spill
	v_frexp_exp_i32_f64_e32 v5, v[21:22]
	buffer_store_dword v5, off, s[56:59], 0 ; 4-byte Folded Spill
	v_frexp_mant_f32_e64 v5, |v24|
	buffer_store_dword v12, off, s[56:59], 0 offset:20 ; 4-byte Folded Spill
	buffer_store_dword v3, off, s[56:59], 0 offset:24 ; 4-byte Folded Spill
	v_mov_b32_e32 v3, v1
	v_ldexp_f32 v34, v5, 1
	buffer_store_dword v3, off, s[56:59], 0 offset:28 ; 4-byte Folded Spill
	v_mov_b32_e32 v3, v7
	buffer_store_dword v3, off, s[56:59], 0 offset:32 ; 4-byte Folded Spill
	buffer_store_dword v0, off, s[56:59], 0 offset:36 ; 4-byte Folded Spill
	s_branch .LBB2_2
.LBB2_1:                                ;   in Loop: Header=BB2_2 Depth=1
	v_add_co_u32 v11, vcc_lo, v17, v15
	v_add_co_ci_u32_e64 v12, null, v18, v16, vcc_lo
	v_cvt_f16_i16_e32 v3, v41
	s_clause 0x2
	global_load_dwordx4 v[19:22], v[11:12], off offset:1360
	global_load_dwordx2 v[11:12], v[11:12], off offset:1376
	global_load_dword v0, v[17:18], off offset:800
	v_cvt_f32_f16_e32 v3, v3
	s_waitcnt vmcnt(2)
	v_mul_f32_e32 v5, v115, v20
	s_waitcnt vmcnt(1)
	v_mul_f32_e32 v11, v115, v11
	v_lshl_add_u32 v20, s53, 14, v4
	s_waitcnt vmcnt(0)
	v_add_f32_e32 v0, v0, v3
	s_add_i32 s53, s53, 1
	v_fmac_f32_e32 v5, v114, v19
	v_fmac_f32_e32 v11, v114, v22
	v_mad_i64_i32 v[26:27], null, v20, 12, s[36:37]
	v_mul_f32_e32 v22, 0.5, v0
	v_add_f32_e32 v20, v21, v5
	v_add_f32_e32 v21, v12, v11
	s_cmp_eq_u32 s53, 64
	global_store_dwordx3 v[26:27], v[20:22], off
	s_cbranch_scc1 .LBB2_252
.LBB2_2:                                ; =>This Loop Header: Depth=1
                                        ;     Child Loop BB2_34 Depth 2
                                        ;       Child Loop BB2_154 Depth 3
                                        ;       Child Loop BB2_167 Depth 3
	s_add_i32 s4, s53, s33
                                        ; implicit-def: $vgpr21_vgpr22
	s_ashr_i32 s5, s4, 31
	s_lshr_b32 s5, s5, 21
	s_add_i32 s5, s4, s5
	s_and_b32 s5, s5, 0x3f800
	s_sub_i32 s4, s4, s5
	s_cmp_lt_i32 s35, 2
	v_lshl_add_u32 v11, s4, 14, v4
	s_mov_b32 s4, -1
	v_ashrrev_i32_e32 v12, 31, v11
	v_lshlrev_b64 v[11:12], 1, v[11:12]
	v_add_co_u32 v11, vcc_lo, s42, v11
	v_add_co_ci_u32_e64 v12, null, s43, v12, vcc_lo
	global_load_ushort v0, v[11:12], off
	s_waitcnt vmcnt(0)
	v_lshlrev_b32_e32 v3, 2, v0
	v_lshlrev_b32_e32 v0, 1, v0
	global_load_dword v3, v3, s[38:39]
	global_load_ushort v41, v0, s[40:41]
	s_waitcnt vmcnt(1)
	v_cvt_f16_i16_e32 v0, v3
	v_cvt_f16_i16_sdwa v3, v3 dst_sel:DWORD dst_unused:UNUSED_PAD src0_sel:WORD_1
	v_cvt_f32_f16_e32 v19, v0
	v_cvt_f32_f16_e32 v20, v3
	s_cbranch_scc1 .LBB2_14
; %bb.3:                                ;   in Loop: Header=BB2_2 Depth=1
	v_mov_b32_e32 v22, v20
	v_mov_b32_e32 v21, v19
	s_cmp_eq_u32 s35, 2
	s_cbranch_scc0 .LBB2_13
; %bb.4:                                ;   in Loop: Header=BB2_2 Depth=1
	buffer_load_dword v3, off, s[56:59], 0 offset:52 ; 4-byte Folded Reload
	v_mov_b32_e32 v0, 1
	v_mul_f32_e32 v22, 0.5, v20
	v_mul_f32_e32 v21, 0.5, v19
	s_waitcnt vmcnt(0)
	v_cmp_gt_i16_sdwa s4, v3, v0 src0_sel:BYTE_0 src1_sel:DWORD
	s_and_saveexec_b32 s5, s4
	s_xor_b32 s4, exec_lo, s5
	s_cbranch_execz .LBB2_8
; %bb.5:                                ;   in Loop: Header=BB2_2 Depth=1
	buffer_load_dword v3, off, s[56:59], 0 offset:52 ; 4-byte Folded Reload
	v_mov_b32_e32 v0, 2
	s_waitcnt vmcnt(0)
	v_cmp_eq_u16_sdwa s6, v3, v0 src0_sel:BYTE_0 src1_sel:DWORD
	s_and_saveexec_b32 s5, s6
; %bb.6:                                ;   in Loop: Header=BB2_2 Depth=1
	v_add_f32_e32 v22, 0.5, v22
; %bb.7:                                ;   in Loop: Header=BB2_2 Depth=1
	s_or_b32 exec_lo, exec_lo, s5
.LBB2_8:                                ;   in Loop: Header=BB2_2 Depth=1
	s_andn2_saveexec_b32 s4, s4
	s_cbranch_execz .LBB2_12
; %bb.9:                                ;   in Loop: Header=BB2_2 Depth=1
	buffer_load_dword v3, off, s[56:59], 0 offset:52 ; 4-byte Folded Reload
	v_mov_b32_e32 v0, 1
	s_waitcnt vmcnt(0)
	v_cmp_eq_u16_sdwa s6, v3, v0 src0_sel:BYTE_0 src1_sel:DWORD
	s_and_saveexec_b32 s5, s6
; %bb.10:                               ;   in Loop: Header=BB2_2 Depth=1
	v_add_f32_e32 v21, 0.5, v21
; %bb.11:                               ;   in Loop: Header=BB2_2 Depth=1
	s_or_b32 exec_lo, exec_lo, s5
.LBB2_12:                               ;   in Loop: Header=BB2_2 Depth=1
	s_or_b32 exec_lo, exec_lo, s4
.LBB2_13:                               ;   in Loop: Header=BB2_2 Depth=1
	s_mov_b32 s4, 0
.LBB2_14:                               ;   in Loop: Header=BB2_2 Depth=1
	s_andn2_b32 vcc_lo, exec_lo, s4
	s_cbranch_vccnz .LBB2_26
; %bb.15:                               ;   in Loop: Header=BB2_2 Depth=1
	s_cmp_lg_u32 s35, 1
	s_cbranch_scc1 .LBB2_25
; %bb.16:                               ;   in Loop: Header=BB2_2 Depth=1
	buffer_load_dword v0, off, s[56:59], 0 offset:48 ; 4-byte Folded Reload
	v_mul_f32_e32 v20, 0.5, v20
	v_mul_f32_e32 v19, 0.5, v19
	s_mov_b32 s4, exec_lo
	s_waitcnt vmcnt(0)
	v_cmpx_lt_i32_e32 1, v0
	s_xor_b32 s4, exec_lo, s4
	s_cbranch_execz .LBB2_20
; %bb.17:                               ;   in Loop: Header=BB2_2 Depth=1
	buffer_load_dword v0, off, s[56:59], 0 offset:48 ; 4-byte Folded Reload
	s_mov_b32 s5, exec_lo
	s_waitcnt vmcnt(0)
	v_cmpx_eq_u32_e32 2, v0
; %bb.18:                               ;   in Loop: Header=BB2_2 Depth=1
	v_add_f32_e32 v20, 0.5, v20
; %bb.19:                               ;   in Loop: Header=BB2_2 Depth=1
	s_or_b32 exec_lo, exec_lo, s5
.LBB2_20:                               ;   in Loop: Header=BB2_2 Depth=1
	s_andn2_saveexec_b32 s4, s4
	s_cbranch_execz .LBB2_24
; %bb.21:                               ;   in Loop: Header=BB2_2 Depth=1
	buffer_load_dword v0, off, s[56:59], 0 offset:48 ; 4-byte Folded Reload
	s_mov_b32 s5, exec_lo
	s_waitcnt vmcnt(0)
	v_cmpx_eq_u32_e32 1, v0
; %bb.22:                               ;   in Loop: Header=BB2_2 Depth=1
	v_add_f32_e32 v19, 0.5, v19
; %bb.23:                               ;   in Loop: Header=BB2_2 Depth=1
	s_or_b32 exec_lo, exec_lo, s5
.LBB2_24:                               ;   in Loop: Header=BB2_2 Depth=1
	s_or_b32 exec_lo, exec_lo, s4
.LBB2_25:                               ;   in Loop: Header=BB2_2 Depth=1
	v_mov_b32_e32 v22, v20
	v_mov_b32_e32 v21, v19
.LBB2_26:                               ;   in Loop: Header=BB2_2 Depth=1
	s_clause 0x2
	buffer_load_dword v3, off, s[56:59], 0 offset:36
	buffer_load_dword v5, off, s[56:59], 0 offset:28
	buffer_load_dword v0, off, s[56:59], 0 offset:32
	s_mov_b32 s44, 0
	s_waitcnt vmcnt(2)
	v_mul_f32_e32 v3, v21, v3
	s_waitcnt vmcnt(1)
	v_fmac_f32_e32 v3, v22, v5
	buffer_load_dword v5, off, s[56:59], 0 offset:24 ; 4-byte Folded Reload
	s_waitcnt vmcnt(1)
	v_mul_f32_e32 v0, v22, v0
	s_waitcnt vmcnt(0)
	v_fmac_f32_e32 v0, v21, v5
	buffer_load_dword v5, off, s[56:59], 0 offset:16 ; 4-byte Folded Reload
	s_waitcnt vmcnt(0)
	v_add_f32_e32 v21, v5, v0
	buffer_load_dword v0, off, s[56:59], 0 offset:20 ; 4-byte Folded Reload
	v_and_b32_e32 v64, 0x7fffffff, v21
	v_mul_f32_e32 v116, 0x40490fdb, v21
	v_mul_f32_e32 v75, 0x40400000, v21
	v_and_b32_e32 v117, 0x7fffffff, v116
	v_and_b32_e32 v76, 0x7fffffff, v75
	v_cmp_gt_f32_e64 s23, 0x48000000, |v116|
	v_cmp_class_f32_e64 s25, v116, 0x1f8
	v_cmp_class_f32_e64 s14, v75, 0x1f8
	s_waitcnt vmcnt(0)
	v_add_f32_e32 v22, v0, v3
	v_mul_f32_e32 v3, v22, v22
	v_cmp_class_f32_e64 s5, v22, 0x204
	v_and_b32_e32 v60, 0x7fffffff, v22
	v_mul_f32_e32 v94, 0x40490fdb, v22
	v_mul_f32_e32 v73, 0x40400000, v22
	v_fma_f32 v20, v21, v21, v3
	v_fma_f32 v3, -v21, v21, v3
	v_and_or_b32 v29, v60, s47, 0x800000
	v_and_b32_e32 v95, 0x7fffffff, v94
	v_and_b32_e32 v74, 0x7fffffff, v73
	v_cmp_gt_f32_e32 vcc_lo, 0xf800000, v20
	v_mul_f32_e32 v0, 0x4f800000, v20
	v_cmp_gt_f32_e64 s16, 0x48000000, |v94|
	v_cmp_class_f32_e64 s19, v94, 0x1f8
	v_cndmask_b32_e32 v0, v20, v0, vcc_lo
	v_sqrt_f32_e32 v5, v0
	v_add_nc_u32_e32 v11, -1, v5
	v_fma_f32 v12, -v11, v5, v0
	v_cmp_ge_f32_e64 s4, 0, v12
	v_add_nc_u32_e32 v12, 1, v5
	v_cndmask_b32_e64 v11, v5, v11, s4
	v_fma_f32 v5, -v12, v5, v0
	v_cmp_lt_f32_e64 s4, 0, v5
	v_cndmask_b32_e64 v5, v11, v12, s4
	v_cmp_gt_i32_e64 s4, 0, v21
	v_mul_f32_e32 v11, 0x37800000, v5
	v_cndmask_b32_e32 v5, v5, v11, vcc_lo
	v_cmp_class_f32_e64 vcc_lo, v0, 0x260
	v_cndmask_b32_e32 v42, v5, v0, vcc_lo
	v_div_scale_f32 v0, null, v42, v42, 1.0
	v_and_b32_e32 v107, 0x7fffffff, v42
	v_mul_f32_e32 v114, 0x40490fdb, v42
	v_mul_f32_e32 v40, v42, v42
	v_rcp_f32_e32 v5, v0
	v_and_b32_e32 v115, 0x7fffffff, v114
	v_fma_f32 v11, -v0, v5, 1.0
	v_fmac_f32_e32 v5, v11, v5
	v_div_scale_f32 v11, vcc_lo, 1.0, v42, 1.0
	v_mul_f32_e32 v12, v11, v5
	v_fma_f32 v19, -v0, v12, v11
	v_fmac_f32_e32 v12, v19, v5
	v_fma_f32 v0, -v0, v12, v11
	v_div_fmas_f32 v0, v0, v5, v12
	v_max_f32_e64 v5, |v21|, |v22|
	v_cmp_gt_f32_e64 vcc_lo, |v22|, |v21|
	v_div_fixup_f32 v57, v0, v42, 1.0
	v_frexp_exp_i32_f32_e32 v11, v5
	v_frexp_mant_f32_e32 v5, v5
	v_min_f32_e64 v0, |v21|, |v22|
	v_rcp_f32_e32 v5, v5
	v_frexp_exp_i32_f32_e32 v12, v0
	v_frexp_mant_f32_e32 v0, v0
	v_mul_f32_e32 v0, v0, v5
	v_sub_nc_u32_e32 v5, v12, v11
	v_ldexp_f32 v0, v0, v5
	v_mul_f32_e32 v5, v0, v0
	v_fmaak_f32 v11, s46, v5, 0xbc7a590c
	v_fmaak_f32 v11, v5, v11, 0x3d29fb3f
	;; [unrolled: 1-line block ×7, first 2 shown]
	v_mul_f32_e32 v5, v5, v11
	v_fmac_f32_e32 v0, v0, v5
	v_sub_f32_e32 v5, 0x3fc90fdb, v0
	v_cndmask_b32_e32 v0, v0, v5, vcc_lo
	v_cmp_gt_f32_e32 vcc_lo, 0, v21
	v_sub_f32_e32 v5, 0x40490fdb, v0
	v_cndmask_b32_e32 v0, v0, v5, vcc_lo
	v_cndmask_b32_e64 v5, 0, 0x40490fdb, s4
	v_cmp_eq_f32_e64 s4, 0, v22
	v_cndmask_b32_e64 v0, v0, v5, s4
	v_mov_b32_e32 v5, 0x4016cbe4
	v_cmp_class_f32_e64 s4, v21, 0x204
	v_cndmask_b32_e32 v5, 0x3f490fdb, v5, vcc_lo
	s_and_b32 vcc_lo, s5, s4
	v_cmp_gt_f32_e64 s4, 0x48000000, |v22|
	v_cndmask_b32_e32 v0, v0, v5, vcc_lo
	v_lshrrev_b32_e32 v5, 23, v60
	v_cmp_o_f32_e32 vcc_lo, v21, v22
	v_add_nc_u32_e32 v5, 0xffffff88, v5
	v_cndmask_b32_e32 v0, 0x7fc00000, v0, vcc_lo
	v_cmp_lt_u32_e32 vcc_lo, 63, v5
	v_and_b32_e32 v71, 0x7fffffff, v0
	v_bfi_b32 v19, 0x7fffffff, v0, v22
	v_cmp_class_f32_e64 s13, v0, 0x1f8
	v_cndmask_b32_e64 v11, 0, 0xffffffc0, vcc_lo
	v_add_f32_e32 v81, v42, v19
	v_sub_f32_e32 v96, v19, v42
	v_mul_f32_e32 v126, v42, v19
	v_add_nc_u32_e32 v5, v11, v5
	v_mul_f32_e32 v54, 0.5, v19
	v_and_b32_e32 v82, 0x7fffffff, v81
	v_and_b32_e32 v97, 0x7fffffff, v96
	;; [unrolled: 1-line block ×3, first 2 shown]
	v_cmp_lt_u32_e64 s5, 31, v5
	v_cndmask_b32_e64 v11, 0, 0xffffffe0, s5
	v_add_nc_u32_e32 v5, v11, v5
	v_cmp_lt_u32_e64 s6, 31, v5
	v_cndmask_b32_e64 v11, 0, 0xffffffe0, s6
	v_add_nc_u32_e32 v23, v11, v5
	v_mad_u64_u32 v[11:12], null, 0xfe5163ab, v29, 0
	v_cmp_eq_u32_e64 s7, 0, v23
	v_sub_nc_u32_e32 v23, 32, v23
	v_mov_b32_e32 v5, v12
	v_mad_u64_u32 v[26:27], null, 0x3c439041, v29, v[5:6]
	v_mov_b32_e32 v5, v27
	v_mad_u64_u32 v[32:33], null, 0xdb629599, v29, v[5:6]
	v_mov_b32_e32 v5, v33
	v_cndmask_b32_e32 v11, v32, v11, vcc_lo
	v_mad_u64_u32 v[36:37], null, 0xf534ddc0, v29, v[5:6]
	v_mov_b32_e32 v5, v37
	v_cndmask_b32_e32 v26, v36, v26, vcc_lo
	v_mad_u64_u32 v[37:38], null, 0xfc2757d1, v29, v[5:6]
	v_cndmask_b32_e64 v11, v26, v11, s5
	v_mov_b32_e32 v5, v38
	v_mad_u64_u32 v[43:44], null, 0x4e441529, v29, v[5:6]
	v_mov_b32_e32 v5, v44
	v_cndmask_b32_e32 v12, v43, v36, vcc_lo
	v_mad_u64_u32 v[44:45], null, 0xa2f9836e, v29, v[5:6]
	v_cndmask_b32_e32 v5, v44, v37, vcc_lo
	v_cndmask_b32_e32 v29, v45, v43, vcc_lo
	v_cndmask_b32_e64 v27, v5, v12, s5
	v_cndmask_b32_e64 v5, v29, v5, s5
	v_cndmask_b32_e32 v29, v37, v32, vcc_lo
	v_cndmask_b32_e64 v5, v5, v27, s6
	v_cndmask_b32_e64 v12, v12, v29, s5
	;; [unrolled: 1-line block ×3, first 2 shown]
	v_cmp_class_f32_e64 s5, v22, 0x1f8
	v_cndmask_b32_e64 v27, v27, v12, s6
	v_cndmask_b32_e64 v12, v12, v29, s6
	;; [unrolled: 1-line block ×3, first 2 shown]
	v_cmp_gt_f32_e64 s6, 0x48000000, |v21|
	v_alignbit_b32 v30, v5, v27, v23
	v_cndmask_b32_e64 v5, v30, v5, s7
	v_alignbit_b32 v30, v27, v12, v23
	v_alignbit_b32 v23, v12, v11, v23
	v_bfe_u32 v36, v5, 29, 1
	v_cndmask_b32_e64 v27, v30, v27, s7
	v_cndmask_b32_e64 v12, v23, v12, s7
	v_lshrrev_b32_e32 v33, 29, v5
	v_sub_nc_u32_e32 v37, 0, v36
	v_alignbit_b32 v30, v5, v27, 30
	v_alignbit_b32 v23, v27, v12, 30
	;; [unrolled: 1-line block ×3, first 2 shown]
	v_lshrrev_b32_e32 v5, 30, v5
	v_xor_b32_e32 v30, v30, v37
	v_xor_b32_e32 v23, v23, v37
	;; [unrolled: 1-line block ×3, first 2 shown]
	v_add_nc_u32_e32 v62, v36, v5
	v_mul_f32_e64 v5, 0x3f22f983, |v22|
	v_ffbh_u32_e32 v26, v30
	v_rndne_f32_e32 v5, v5
	v_min_u32_e32 v26, 32, v26
	v_fma_f32 v63, 0xbfc90fda, v5, |v22|
	v_sub_nc_u32_e32 v27, 31, v26
	v_cvt_i32_f32_e32 v65, v5
	v_fmac_f32_e32 v63, 0xb3a22168, v5
	v_alignbit_b32 v29, v30, v23, v27
	v_alignbit_b32 v11, v23, v11, v27
	v_fmac_f32_e32 v63, 0xa7c234c4, v5
	v_lshrrev_b32_e32 v5, 23, v64
	v_alignbit_b32 v12, v29, v11, 9
	v_add_nc_u32_e32 v5, 0xffffff88, v5
	v_ffbh_u32_e32 v23, v12
	v_cmp_lt_u32_e32 vcc_lo, 63, v5
	v_min_u32_e32 v23, 32, v23
	v_not_b32_e32 v27, v23
	v_add_lshl_u32 v23, v23, v26, 23
	v_lshlrev_b32_e32 v26, 23, v26
	v_alignbit_b32 v11, v12, v11, v27
	v_lshlrev_b32_e32 v12, 31, v33
	v_lshrrev_b32_e32 v11, 9, v11
	v_or_b32_e32 v27, 0x33000000, v12
	v_or_b32_e32 v12, 0.5, v12
	v_sub_nc_u32_e32 v23, v27, v23
	v_sub_nc_u32_e32 v12, v12, v26
	v_or_b32_e32 v11, v23, v11
	v_lshrrev_b32_e32 v23, 9, v29
	v_or_b32_e32 v12, v23, v12
	v_mul_f32_e32 v23, 0x3fc90fda, v12
	v_fma_f32 v26, 0x3fc90fda, v12, -v23
	v_fmac_f32_e32 v26, 0x33a22168, v12
	v_and_or_b32 v12, v64, s47, 0x800000
	v_fmac_f32_e32 v26, 0x3fc90fda, v11
	v_cndmask_b32_e64 v11, 0, 0xffffffc0, vcc_lo
	v_add_f32_e32 v61, v23, v26
	v_add_nc_u32_e32 v5, v11, v5
	v_mad_u64_u32 v[26:27], null, 0xfe5163ab, v12, 0
	v_cmp_lt_u32_e64 s7, 31, v5
	v_cndmask_b32_e64 v11, 0, 0xffffffe0, s7
	v_add_nc_u32_e32 v5, v11, v5
	v_cmp_lt_u32_e64 s8, 31, v5
	v_cndmask_b32_e64 v11, 0, 0xffffffe0, s8
	v_add_nc_u32_e32 v11, v11, v5
	v_mov_b32_e32 v5, v27
	v_cmp_eq_u32_e64 s9, 0, v11
	v_mad_u64_u32 v[32:33], null, 0x3c439041, v12, v[5:6]
	v_sub_nc_u32_e32 v11, 32, v11
	v_mov_b32_e32 v5, v33
	v_mad_u64_u32 v[36:37], null, 0xdb629599, v12, v[5:6]
	v_mov_b32_e32 v5, v37
	v_cndmask_b32_e32 v26, v36, v26, vcc_lo
	v_mad_u64_u32 v[37:38], null, 0xf534ddc0, v12, v[5:6]
	v_mov_b32_e32 v5, v38
	v_mad_u64_u32 v[43:44], null, 0xfc2757d1, v12, v[5:6]
	v_mov_b32_e32 v5, v44
	;; [unrolled: 2-line block ×3, first 2 shown]
	v_cndmask_b32_e32 v23, v44, v37, vcc_lo
	v_mad_u64_u32 v[45:46], null, 0xa2f9836e, v12, v[5:6]
	v_cndmask_b32_e32 v5, v45, v43, vcc_lo
	v_cndmask_b32_e32 v27, v46, v44, vcc_lo
	v_cndmask_b32_e64 v12, v5, v23, s7
	v_cndmask_b32_e64 v5, v27, v5, s7
	v_cndmask_b32_e32 v27, v43, v36, vcc_lo
	v_cndmask_b32_e64 v5, v5, v12, s8
	v_cndmask_b32_e64 v23, v23, v27, s7
	;; [unrolled: 1-line block ×3, first 2 shown]
	v_alignbit_b32 v29, v5, v12, v11
	v_cndmask_b32_e64 v5, v29, v5, s9
	v_cndmask_b32_e32 v29, v37, v32, vcc_lo
	v_bfe_u32 v33, v5, 29, 1
	v_cndmask_b32_e64 v27, v27, v29, s7
	v_cndmask_b32_e64 v26, v29, v26, s7
	v_lshrrev_b32_e32 v32, 29, v5
	v_cmp_class_f32_e64 s7, v21, 0x1f8
	v_sub_nc_u32_e32 v37, 0, v33
	v_cndmask_b32_e64 v23, v23, v27, s8
	v_cndmask_b32_e64 v26, v27, v26, s8
	v_alignbit_b32 v30, v12, v23, v11
	v_alignbit_b32 v11, v23, v26, v11
	v_cndmask_b32_e64 v12, v30, v12, s9
	v_cndmask_b32_e64 v11, v11, v23, s9
	v_cmp_gt_f32_e64 s9, 0x48000000, |v0|
	v_alignbit_b32 v30, v5, v12, 30
	v_alignbit_b32 v12, v12, v11, 30
	;; [unrolled: 1-line block ×3, first 2 shown]
	v_lshrrev_b32_e32 v5, 30, v5
	v_xor_b32_e32 v30, v30, v37
	v_xor_b32_e32 v12, v12, v37
	;; [unrolled: 1-line block ×3, first 2 shown]
	v_add_nc_u32_e32 v69, v33, v5
	v_add_nc_u32_e32 v67, v32, v5
	v_ffbh_u32_e32 v23, v30
	v_div_scale_f32 v5, null, v3, v3, 1.0
	v_min_u32_e32 v23, 32, v23
	v_sub_nc_u32_e32 v27, 31, v23
	v_alignbit_b32 v29, v30, v12, v27
	v_alignbit_b32 v11, v12, v11, v27
	;; [unrolled: 1-line block ×3, first 2 shown]
	v_ffbh_u32_e32 v26, v12
	v_min_u32_e32 v26, 32, v26
	v_not_b32_e32 v27, v26
	v_add_lshl_u32 v26, v26, v23, 23
	v_lshlrev_b32_e32 v23, 23, v23
	v_alignbit_b32 v11, v12, v11, v27
	v_lshlrev_b32_e32 v12, 31, v32
	v_lshrrev_b32_e32 v11, 9, v11
	v_or_b32_e32 v27, 0x33000000, v12
	v_or_b32_e32 v12, 0.5, v12
	v_sub_nc_u32_e32 v26, v27, v26
	v_sub_nc_u32_e32 v12, v12, v23
	v_or_b32_e32 v11, v26, v11
	v_lshrrev_b32_e32 v26, 9, v29
	v_or_b32_e32 v12, v26, v12
	v_mul_f32_e32 v23, 0x3fc90fda, v12
	v_fma_f32 v26, 0x3fc90fda, v12, -v23
	v_fmac_f32_e32 v26, 0x33a22168, v12
	v_fmac_f32_e32 v26, 0x3fc90fda, v11
	v_mul_f32_e64 v11, 0x3f22f983, |v21|
	v_add_f32_e32 v68, v23, v26
	v_rndne_f32_e32 v11, v11
	v_fma_f32 v70, 0xbfc90fda, v11, |v21|
	v_cvt_i32_f32_e32 v66, v11
	v_fmac_f32_e32 v70, 0xb3a22168, v11
	v_fmac_f32_e32 v70, 0xa7c234c4, v11
	v_rcp_f32_e32 v11, v5
	v_fma_f32 v12, -v5, v11, 1.0
	v_fmac_f32_e32 v11, v12, v11
	v_div_scale_f32 v12, vcc_lo, 1.0, v3, 1.0
	v_mul_f32_e32 v23, v12, v11
	v_fma_f32 v26, -v5, v23, v12
	v_fmac_f32_e32 v23, v26, v11
	v_fma_f32 v5, -v5, v23, v12
	v_div_fmas_f32 v5, v5, v11, v23
	v_div_fixup_f32 v3, v5, v3, 1.0
	v_mul_f32_e64 v5, v22, |v3|
	v_mul_f32_e64 v3, v21, |v3|
	buffer_store_dword v5, off, s[56:59], 0 offset:8 ; 4-byte Folded Spill
	buffer_store_dword v3, off, s[56:59], 0 offset:12 ; 4-byte Folded Spill
	v_fma_f32 v3, v42, v42, 4.0
	v_div_scale_f32 v5, null, v3, v3, 4.0
	v_rcp_f32_e32 v11, v5
	v_fma_f32 v12, -v5, v11, 1.0
	v_fmac_f32_e32 v11, v12, v11
	v_div_scale_f32 v12, vcc_lo, 4.0, v3, 4.0
	v_mul_f32_e32 v23, v12, v11
	v_fma_f32 v26, -v5, v23, v12
	v_fmac_f32_e32 v23, v26, v11
	v_fma_f32 v5, -v5, v23, v12
	v_div_fmas_f32 v5, v5, v11, v23
	v_div_fixup_f32 v3, v5, v3, 4.0
	v_mul_f32_e32 v46, v22, v3
	v_mul_f32_e32 v47, v21, v3
	v_add_f32_e32 v3, 1.0, v42
	v_div_scale_f32 v5, null, v3, v3, 2.0
	v_rcp_f32_e32 v11, v5
	v_fma_f32 v12, -v5, v11, 1.0
	v_fmac_f32_e32 v11, v12, v11
	v_div_scale_f32 v12, vcc_lo, 2.0, v3, 2.0
	v_mul_f32_e32 v23, v12, v11
	v_fma_f32 v26, -v5, v23, v12
	v_fmac_f32_e32 v23, v26, v11
	v_fma_f32 v5, -v5, v23, v12
	v_div_fmas_f32 v5, v5, v11, v23
	v_and_or_b32 v23, v71, s47, 0x800000
	v_div_fixup_f32 v3, v5, v3, 2.0
	v_mad_u64_u32 v[11:12], null, 0xfe5163ab, v23, 0
	v_mul_f32_e32 v48, v22, v3
	v_mul_f32_e32 v49, v21, v3
	v_lshrrev_b32_e32 v3, 23, v71
	v_add_nc_u32_e32 v3, 0xffffff88, v3
	v_cmp_lt_u32_e32 vcc_lo, 63, v3
	v_cndmask_b32_e64 v5, 0, 0xffffffc0, vcc_lo
	v_add_nc_u32_e32 v3, v5, v3
	v_cmp_lt_u32_e64 s8, 31, v3
	v_cndmask_b32_e64 v5, 0, 0xffffffe0, s8
	v_add_nc_u32_e32 v3, v5, v3
	v_cmp_lt_u32_e64 s10, 31, v3
	v_cndmask_b32_e64 v5, 0, 0xffffffe0, s10
	v_add_nc_u32_e32 v3, v5, v3
	v_mov_b32_e32 v5, v12
	v_cmp_eq_u32_e64 s11, 0, v3
	v_mad_u64_u32 v[26:27], null, 0x3c439041, v23, v[5:6]
	v_sub_nc_u32_e32 v3, 32, v3
	v_mov_b32_e32 v5, v27
	v_mad_u64_u32 v[32:33], null, 0xdb629599, v23, v[5:6]
	v_mov_b32_e32 v5, v33
	v_cndmask_b32_e32 v11, v32, v11, vcc_lo
	v_mad_u64_u32 v[36:37], null, 0xf534ddc0, v23, v[5:6]
	v_mov_b32_e32 v5, v37
	v_cndmask_b32_e32 v26, v36, v26, vcc_lo
	v_mad_u64_u32 v[37:38], null, 0xfc2757d1, v23, v[5:6]
	v_cndmask_b32_e64 v11, v26, v11, s8
	v_mov_b32_e32 v5, v38
	v_mad_u64_u32 v[50:51], null, 0x4e441529, v23, v[5:6]
	v_mov_b32_e32 v5, v51
	v_cndmask_b32_e32 v12, v50, v36, vcc_lo
	v_mad_u64_u32 v[51:52], null, 0xa2f9836e, v23, v[5:6]
	v_cndmask_b32_e32 v5, v51, v37, vcc_lo
	v_cndmask_b32_e32 v27, v52, v50, vcc_lo
	v_cndmask_b32_e64 v23, v5, v12, s8
	v_cndmask_b32_e64 v5, v27, v5, s8
	v_cndmask_b32_e32 v27, v37, v32, vcc_lo
	v_cndmask_b32_e64 v5, v5, v23, s10
	v_cndmask_b32_e64 v12, v12, v27, s8
	;; [unrolled: 1-line block ×6, first 2 shown]
	v_alignbit_b32 v29, v5, v23, v3
	v_cndmask_b32_e64 v5, v29, v5, s11
	v_alignbit_b32 v29, v23, v12, v3
	v_alignbit_b32 v3, v12, v11, v3
	v_bfe_u32 v33, v5, 29, 1
	v_cndmask_b32_e64 v23, v29, v23, s11
	v_cndmask_b32_e64 v3, v3, v12, s11
	v_lshrrev_b32_e32 v30, 29, v5
	v_sub_nc_u32_e32 v36, 0, v33
	v_alignbit_b32 v29, v5, v23, 30
	v_alignbit_b32 v12, v23, v3, 30
	v_alignbit_b32 v3, v3, v11, 30
	v_xor_b32_e32 v29, v29, v36
	v_xor_b32_e32 v12, v12, v36
	;; [unrolled: 1-line block ×3, first 2 shown]
	v_ffbh_u32_e32 v23, v29
	v_min_u32_e32 v23, 32, v23
	v_sub_nc_u32_e32 v26, 31, v23
	v_alignbit_b32 v27, v29, v12, v26
	v_alignbit_b32 v3, v12, v3, v26
	;; [unrolled: 1-line block ×3, first 2 shown]
	v_ffbh_u32_e32 v12, v11
	v_min_u32_e32 v12, 32, v12
	v_not_b32_e32 v26, v12
	v_add_lshl_u32 v12, v12, v23, 23
	v_lshlrev_b32_e32 v23, 23, v23
	v_alignbit_b32 v3, v11, v3, v26
	v_lshlrev_b32_e32 v11, 31, v30
	v_lshrrev_b32_e32 v3, 9, v3
	v_or_b32_e32 v26, 0x33000000, v11
	v_or_b32_e32 v11, 0.5, v11
	v_sub_nc_u32_e32 v12, v26, v12
	v_sub_nc_u32_e32 v11, v11, v23
	v_or_b32_e32 v3, v12, v3
	v_lshrrev_b32_e32 v12, 9, v27
	v_or_b32_e32 v11, v12, v11
	v_mul_f32_e32 v12, 0x3fc90fda, v11
	v_fma_f32 v23, 0x3fc90fda, v11, -v12
	v_fmac_f32_e32 v23, 0x33a22168, v11
	v_fmac_f32_e32 v23, 0x3fc90fda, v3
	v_lshrrev_b32_e32 v3, 30, v5
	v_add_f32_e32 v72, v12, v23
	v_add_nc_u32_e32 v83, v33, v3
	v_mul_f32_e64 v3, 0x3f22f983, |v0|
	v_rndne_f32_e32 v3, v3
	v_fma_f32 v84, 0xbfc90fda, v3, |v0|
	v_lshrrev_b32_e32 v0, 23, v95
	v_cvt_i32_f32_e32 v85, v3
	v_fmac_f32_e32 v84, 0xb3a22168, v3
	v_add_nc_u32_e32 v0, 0xffffff88, v0
	v_fmac_f32_e32 v84, 0xa7c234c4, v3
	v_cmp_lt_u32_e32 vcc_lo, 63, v0
	v_cndmask_b32_e64 v3, 0, 0xffffffc0, vcc_lo
	v_add_nc_u32_e32 v0, v3, v0
	v_cmp_lt_u32_e64 s8, 31, v0
	v_cndmask_b32_e64 v3, 0, 0xffffffe0, s8
	v_add_nc_u32_e32 v0, v3, v0
	v_cmp_lt_u32_e64 s10, 31, v0
	v_cndmask_b32_e64 v3, 0, 0xffffffe0, s10
	v_add_nc_u32_e32 v0, v3, v0
	v_and_or_b32 v3, v95, s47, 0x800000
	v_cmp_eq_u32_e64 s11, 0, v0
	v_mad_u64_u32 v[11:12], null, 0xfe5163ab, v3, 0
	v_sub_nc_u32_e32 v0, 32, v0
	v_mov_b32_e32 v5, v12
	v_mad_u64_u32 v[26:27], null, 0x3c439041, v3, v[5:6]
	v_mov_b32_e32 v5, v27
	v_mad_u64_u32 v[32:33], null, 0xdb629599, v3, v[5:6]
	v_mov_b32_e32 v5, v33
	v_cndmask_b32_e32 v11, v32, v11, vcc_lo
	v_mad_u64_u32 v[36:37], null, 0xf534ddc0, v3, v[5:6]
	v_mov_b32_e32 v5, v37
	v_cndmask_b32_e32 v26, v36, v26, vcc_lo
	v_mad_u64_u32 v[37:38], null, 0xfc2757d1, v3, v[5:6]
	v_cndmask_b32_e64 v11, v26, v11, s8
	v_mov_b32_e32 v5, v38
	v_mad_u64_u32 v[50:51], null, 0x4e441529, v3, v[5:6]
	v_mov_b32_e32 v5, v51
	v_cndmask_b32_e32 v12, v50, v36, vcc_lo
	v_mad_u64_u32 v[51:52], null, 0xa2f9836e, v3, v[5:6]
	v_cndmask_b32_e32 v3, v51, v37, vcc_lo
	v_cndmask_b32_e32 v23, v52, v50, vcc_lo
	v_cndmask_b32_e64 v5, v3, v12, s8
	v_cndmask_b32_e64 v3, v23, v3, s8
	v_cndmask_b32_e32 v23, v37, v32, vcc_lo
	v_cndmask_b32_e64 v3, v3, v5, s10
	v_cndmask_b32_e64 v12, v12, v23, s8
	;; [unrolled: 1-line block ×3, first 2 shown]
	v_cmp_lt_f32_e64 s8, 0x42b2d4fc, |v21|
	v_cndmask_b32_e64 v5, v5, v12, s10
	v_cndmask_b32_e64 v12, v12, v23, s10
	;; [unrolled: 1-line block ×3, first 2 shown]
	v_alignbit_b32 v27, v3, v5, v0
	v_cndmask_b32_e64 v3, v27, v3, s11
	v_alignbit_b32 v27, v5, v12, v0
	v_alignbit_b32 v0, v12, v11, v0
	v_bfe_u32 v30, v3, 29, 1
	v_cndmask_b32_e64 v5, v27, v5, s11
	v_cndmask_b32_e64 v0, v0, v12, s11
	v_lshrrev_b32_e32 v29, 29, v3
	v_sub_nc_u32_e32 v33, 0, v30
	v_alignbit_b32 v27, v3, v5, 30
	v_alignbit_b32 v5, v5, v0, 30
	;; [unrolled: 1-line block ×3, first 2 shown]
	v_xor_b32_e32 v27, v27, v33
	v_xor_b32_e32 v5, v5, v33
	;; [unrolled: 1-line block ×3, first 2 shown]
	v_ffbh_u32_e32 v12, v27
	v_min_u32_e32 v12, 32, v12
	v_sub_nc_u32_e32 v23, 31, v12
	v_alignbit_b32 v26, v27, v5, v23
	v_alignbit_b32 v0, v5, v0, v23
	v_alignbit_b32 v5, v26, v0, 9
	v_ffbh_u32_e32 v11, v5
	v_min_u32_e32 v11, 32, v11
	v_not_b32_e32 v23, v11
	v_add_lshl_u32 v11, v11, v12, 23
	v_lshlrev_b32_e32 v12, 23, v12
	v_alignbit_b32 v0, v5, v0, v23
	v_lshlrev_b32_e32 v5, 31, v29
	v_lshrrev_b32_e32 v0, 9, v0
	v_or_b32_e32 v23, 0x33000000, v5
	v_or_b32_e32 v5, 0.5, v5
	v_sub_nc_u32_e32 v11, v23, v11
	v_sub_nc_u32_e32 v5, v5, v12
	v_or_b32_e32 v0, v11, v0
	v_lshrrev_b32_e32 v11, 9, v26
	v_or_b32_e32 v5, v11, v5
	v_mul_f32_e32 v11, 0x3fc90fda, v5
	v_fma_f32 v12, 0x3fc90fda, v5, -v11
	v_fmac_f32_e32 v12, 0x33a22168, v5
	v_fmac_f32_e32 v12, 0x3fc90fda, v0
	v_lshrrev_b32_e32 v0, 30, v3
	v_add_f32_e32 v99, v11, v12
	v_add_nc_u32_e32 v100, v30, v0
	v_mul_f32_e64 v0, 0x3f22f983, |v94|
	v_rndne_f32_e32 v0, v0
	v_fma_f32 v101, 0xbfc90fda, v0, |v94|
	v_cvt_i32_f32_e32 v102, v0
	v_fmac_f32_e32 v101, 0xb3a22168, v0
	v_fmac_f32_e32 v101, 0xa7c234c4, v0
	v_add_f32_e64 v0, 0xbf317218, |v21|
	v_sub_f32_e64 v3, v0, |v21|
	v_sub_f32_e32 v5, v3, v0
	v_add_f32_e32 v3, 0x3f317218, v3
	v_add_f32_e64 v5, |v21|, v5
	v_sub_f32_e32 v3, v5, v3
	v_add_f32_e32 v3, 0x3102e308, v3
	v_add_f32_e32 v5, v0, v3
	v_sub_f32_e32 v0, v0, v5
	v_add_f32_e32 v0, v3, v0
	v_mul_f32_e32 v3, 0x3fb8aa3b, v5
	v_rndne_f32_e32 v3, v3
	v_fmac_f32_e32 v5, 0xbf317200, v3
	v_add_f32_e32 v11, v0, v5
	v_sub_f32_e32 v5, v5, v11
	v_add_f32_e32 v0, v0, v5
	v_mul_f32_e32 v5, 0x35bfbc00, v3
	v_sub_f32_e32 v12, v11, v5
	v_sub_f32_e32 v11, v11, v12
	;; [unrolled: 1-line block ×3, first 2 shown]
	v_add_f32_e32 v0, v0, v5
	v_add_f32_e32 v5, v12, v0
	v_sub_f32_e32 v11, v12, v5
	v_add_f32_e32 v0, v0, v11
	v_mul_f32_e32 v11, 0x2ea39ef3, v3
	v_cvt_i32_f32_e32 v3, v3
	v_sub_f32_e32 v12, v5, v11
	v_sub_f32_e32 v5, v5, v12
	;; [unrolled: 1-line block ×3, first 2 shown]
	v_add_f32_e32 v0, v0, v5
	v_add_f32_e32 v5, v12, v0
	v_sub_f32_e32 v12, v12, v5
	v_mul_f32_e32 v23, v5, v5
	v_fmaak_f32 v11, s48, v5, 0x3c091de6
	v_add_f32_e32 v0, v0, v12
	v_fma_f32 v26, v5, v5, -v23
	v_fmaak_f32 v11, v5, v11, 0x3d2aadcc
	v_add_f32_e32 v12, v0, v0
	v_fmaak_f32 v11, v5, v11, 0x3e2aaa47
	v_fmac_f32_e32 v26, v5, v12
	v_fmaak_f32 v11, v5, v11, 0x3efffffc
	v_add_f32_e32 v12, v23, v26
	v_sub_f32_e32 v23, v12, v23
	v_sub_f32_e32 v23, v26, v23
	v_mul_f32_e32 v26, v11, v12
	v_fma_f32 v12, v12, v11, -v26
	v_fmac_f32_e32 v12, v23, v11
	v_add_f32_e32 v11, v26, v12
	v_sub_f32_e32 v23, v11, v26
	v_sub_f32_e32 v12, v12, v23
	v_add_f32_e32 v23, v5, v11
	v_add_f32_e32 v0, v0, v12
	v_sub_f32_e32 v5, v23, v5
	v_sub_f32_e32 v5, v11, v5
	v_add_f32_e32 v0, v0, v5
	v_add_f32_e32 v5, v23, v0
	v_sub_f32_e32 v11, v5, v23
	v_sub_f32_e32 v0, v0, v11
	v_add_f32_e32 v11, 1.0, v5
	v_add_f32_e32 v12, -1.0, v11
	v_sub_f32_e32 v5, v5, v12
	v_add_f32_e32 v0, v0, v5
	v_add_f32_e32 v5, v11, v0
	v_sub_f32_e32 v11, v5, v11
	v_ldexp_f32 v5, v5, v3
	v_sub_f32_e32 v0, v0, v11
	v_ldexp_f32 v0, v0, v3
	v_rcp_f32_e32 v3, v5
	v_mul_f32_e32 v11, v5, v3
	v_fma_f32 v12, v3, v5, -v11
	v_fmac_f32_e32 v12, v3, v0
	v_add_f32_e32 v23, v11, v12
	v_sub_f32_e32 v26, 1.0, v23
	v_sub_f32_e32 v11, v23, v11
	v_sub_f32_e32 v27, 1.0, v26
	v_sub_f32_e32 v11, v11, v12
	v_sub_f32_e32 v27, v27, v23
	v_add_f32_e32 v11, v11, v27
	v_add_f32_e32 v12, v26, v11
	v_mul_f32_e32 v23, v3, v12
	v_sub_f32_e32 v26, v26, v12
	v_mul_f32_e32 v27, v5, v23
	v_add_f32_e32 v11, v11, v26
	v_fma_f32 v29, v23, v5, -v27
	v_fmac_f32_e32 v29, v23, v0
	v_add_f32_e32 v26, v27, v29
	v_sub_f32_e32 v30, v12, v26
	v_sub_f32_e32 v27, v26, v27
	;; [unrolled: 1-line block ×4, first 2 shown]
	v_add_f32_e32 v11, v11, v12
	v_sub_f32_e32 v12, v27, v29
	v_add_f32_e32 v11, v12, v11
	v_add_f32_e32 v12, v3, v23
	;; [unrolled: 1-line block ×3, first 2 shown]
	v_mul_f32_e32 v11, v3, v11
	v_sub_f32_e32 v3, v12, v3
	v_sub_f32_e32 v3, v23, v3
	v_add_f32_e32 v3, v3, v11
	v_add_f32_e32 v11, v12, v3
	v_sub_f32_e32 v12, v11, v12
	v_ldexp_f32 v11, v11, -2
	v_sub_f32_e32 v3, v3, v12
	v_add_f32_e32 v12, v5, v11
	v_ldexp_f32 v3, v3, -2
	v_sub_f32_e32 v23, v12, v5
	v_add_f32_e32 v26, v0, v3
	v_sub_f32_e32 v23, v11, v23
	v_add_f32_e32 v23, v26, v23
	v_add_f32_e32 v12, v12, v23
	v_cndmask_b32_e64 v108, v12, 0x7f800000, s8
	v_sub_f32_e32 v12, v5, v11
	v_sub_f32_e32 v5, v5, v12
	;; [unrolled: 1-line block ×3, first 2 shown]
	v_add_f32_e32 v0, v0, v5
	v_sub_f32_e32 v0, v0, v3
	v_add_f32_e32 v0, v12, v0
	v_cndmask_b32_e64 v0, v0, 0x7f800000, s8
	v_cmp_gt_f32_e64 s8, 0x39800000, |v21|
	v_cndmask_b32_e64 v0, v0, |v21|, s8
	v_bfi_b32 v109, 0x7fffffff, v0, v21
	v_add_f32_e32 v0, -1.0, v22
	v_mul_f32_e32 v3, 0x3fb8aa3b, v0
	v_cmp_ngt_f32_e32 vcc_lo, 0xc2ce8ed0, v0
	v_fma_f32 v5, 0x3fb8aa3b, v0, -v3
	v_rndne_f32_e32 v11, v3
	v_fmac_f32_e32 v5, 0x32a5705f, v0
	v_sub_f32_e32 v3, v3, v11
	v_add_f32_e32 v3, v3, v5
	v_cvt_i32_f32_e32 v5, v11
	v_exp_f32_e32 v3, v3
	v_ldexp_f32 v3, v3, v5
	v_cndmask_b32_e32 v3, 0, v3, vcc_lo
	v_cmp_nlt_f32_e32 vcc_lo, 0x42b17218, v0
	v_lshrrev_b32_e32 v0, 23, v117
	v_cndmask_b32_e32 v98, 0x7f800000, v3, vcc_lo
	v_add_nc_u32_e32 v0, 0xffffff88, v0
	v_cmp_lt_u32_e32 vcc_lo, 63, v0
	v_cndmask_b32_e64 v3, 0, 0xffffffc0, vcc_lo
	v_add_nc_u32_e32 v0, v3, v0
	v_cmp_lt_u32_e64 s8, 31, v0
	v_cndmask_b32_e64 v3, 0, 0xffffffe0, s8
	v_add_nc_u32_e32 v0, v3, v0
	v_cmp_lt_u32_e64 s10, 31, v0
	v_cndmask_b32_e64 v3, 0, 0xffffffe0, s10
	v_add_nc_u32_e32 v0, v3, v0
	v_and_or_b32 v3, v117, s47, 0x800000
	v_cmp_eq_u32_e64 s11, 0, v0
	v_mad_u64_u32 v[11:12], null, 0xfe5163ab, v3, 0
	v_sub_nc_u32_e32 v0, 32, v0
	v_mov_b32_e32 v5, v12
	v_mad_u64_u32 v[26:27], null, 0x3c439041, v3, v[5:6]
	v_mov_b32_e32 v5, v27
	v_mad_u64_u32 v[32:33], null, 0xdb629599, v3, v[5:6]
	v_mov_b32_e32 v5, v33
	v_cndmask_b32_e32 v11, v32, v11, vcc_lo
	v_mad_u64_u32 v[36:37], null, 0xf534ddc0, v3, v[5:6]
	v_mov_b32_e32 v5, v37
	v_cndmask_b32_e32 v26, v36, v26, vcc_lo
	v_mad_u64_u32 v[37:38], null, 0xfc2757d1, v3, v[5:6]
	v_cndmask_b32_e64 v11, v26, v11, s8
	v_mov_b32_e32 v5, v38
	v_mad_u64_u32 v[50:51], null, 0x4e441529, v3, v[5:6]
	v_mov_b32_e32 v5, v51
	v_cndmask_b32_e32 v12, v50, v36, vcc_lo
	v_mad_u64_u32 v[51:52], null, 0xa2f9836e, v3, v[5:6]
	v_cndmask_b32_e32 v3, v51, v37, vcc_lo
	v_cndmask_b32_e32 v23, v52, v50, vcc_lo
	v_cndmask_b32_e64 v5, v3, v12, s8
	v_cndmask_b32_e64 v3, v23, v3, s8
	v_cndmask_b32_e32 v23, v37, v32, vcc_lo
	v_cndmask_b32_e64 v3, v3, v5, s10
	v_cndmask_b32_e64 v12, v12, v23, s8
	v_cndmask_b32_e64 v23, v23, v26, s8
	v_cndmask_b32_e64 v5, v5, v12, s10
	v_cndmask_b32_e64 v12, v12, v23, s10
	v_cndmask_b32_e64 v11, v23, v11, s10
	v_alignbit_b32 v27, v3, v5, v0
	v_cndmask_b32_e64 v3, v27, v3, s11
	v_alignbit_b32 v27, v5, v12, v0
	v_alignbit_b32 v0, v12, v11, v0
	v_bfe_u32 v30, v3, 29, 1
	v_cndmask_b32_e64 v5, v27, v5, s11
	v_cndmask_b32_e64 v0, v0, v12, s11
	v_lshrrev_b32_e32 v29, 29, v3
	v_cmp_gt_f32_e64 s11, 0x48000000, |v75|
	v_sub_nc_u32_e32 v33, 0, v30
	v_alignbit_b32 v27, v3, v5, 30
	v_alignbit_b32 v5, v5, v0, 30
	;; [unrolled: 1-line block ×3, first 2 shown]
	v_xor_b32_e32 v27, v27, v33
	v_xor_b32_e32 v5, v5, v33
	;; [unrolled: 1-line block ×3, first 2 shown]
	v_ffbh_u32_e32 v12, v27
	v_min_u32_e32 v12, 32, v12
	v_sub_nc_u32_e32 v23, 31, v12
	v_alignbit_b32 v26, v27, v5, v23
	v_alignbit_b32 v0, v5, v0, v23
	;; [unrolled: 1-line block ×3, first 2 shown]
	v_ffbh_u32_e32 v11, v5
	v_min_u32_e32 v11, 32, v11
	v_not_b32_e32 v23, v11
	v_add_lshl_u32 v11, v11, v12, 23
	v_lshlrev_b32_e32 v12, 23, v12
	v_alignbit_b32 v0, v5, v0, v23
	v_lshlrev_b32_e32 v5, 31, v29
	v_lshrrev_b32_e32 v0, 9, v0
	v_or_b32_e32 v23, 0x33000000, v5
	v_or_b32_e32 v5, 0.5, v5
	v_sub_nc_u32_e32 v11, v23, v11
	v_sub_nc_u32_e32 v5, v5, v12
	v_or_b32_e32 v0, v11, v0
	v_lshrrev_b32_e32 v11, 9, v26
	v_or_b32_e32 v5, v11, v5
	v_mul_f32_e32 v11, 0x3fc90fda, v5
	v_fma_f32 v12, 0x3fc90fda, v5, -v11
	v_fmac_f32_e32 v12, 0x33a22168, v5
	v_fmac_f32_e32 v12, 0x3fc90fda, v0
	v_lshrrev_b32_e32 v0, 30, v3
	v_add_f32_e32 v122, v11, v12
	v_add_nc_u32_e32 v123, v30, v0
	v_mul_f32_e64 v0, 0x3f22f983, |v116|
	v_rndne_f32_e32 v0, v0
	v_fma_f32 v124, 0xbfc90fda, v0, |v116|
	v_cvt_i32_f32_e32 v125, v0
	v_fmac_f32_e32 v124, 0xb3a22168, v0
	v_fmac_f32_e32 v124, 0xa7c234c4, v0
	v_lshrrev_b32_e32 v0, 23, v76
	v_add_nc_u32_e32 v0, 0xffffff88, v0
	v_cmp_lt_u32_e32 vcc_lo, 63, v0
	v_cndmask_b32_e64 v3, 0, 0xffffffc0, vcc_lo
	v_add_nc_u32_e32 v0, v3, v0
	v_cmp_lt_u32_e64 s8, 31, v0
	v_cndmask_b32_e64 v3, 0, 0xffffffe0, s8
	v_add_nc_u32_e32 v0, v3, v0
	v_cmp_lt_u32_e64 s10, 31, v0
	v_cndmask_b32_e64 v3, 0, 0xffffffe0, s10
	v_add_nc_u32_e32 v0, v3, v0
	v_and_or_b32 v3, v76, s47, 0x800000
	v_cmp_eq_u32_e64 s12, 0, v0
	v_mad_u64_u32 v[11:12], null, 0xfe5163ab, v3, 0
	v_sub_nc_u32_e32 v0, 32, v0
	v_mov_b32_e32 v5, v12
	v_mad_u64_u32 v[26:27], null, 0x3c439041, v3, v[5:6]
	v_mov_b32_e32 v5, v27
	v_mad_u64_u32 v[32:33], null, 0xdb629599, v3, v[5:6]
	v_mov_b32_e32 v5, v33
	v_cndmask_b32_e32 v11, v32, v11, vcc_lo
	v_mad_u64_u32 v[36:37], null, 0xf534ddc0, v3, v[5:6]
	v_mov_b32_e32 v5, v37
	v_cndmask_b32_e32 v26, v36, v26, vcc_lo
	v_mad_u64_u32 v[37:38], null, 0xfc2757d1, v3, v[5:6]
	v_cndmask_b32_e64 v11, v26, v11, s8
	v_mov_b32_e32 v5, v38
	v_mad_u64_u32 v[50:51], null, 0x4e441529, v3, v[5:6]
	v_mov_b32_e32 v5, v51
	v_cndmask_b32_e32 v12, v50, v36, vcc_lo
	v_mad_u64_u32 v[51:52], null, 0xa2f9836e, v3, v[5:6]
	v_cndmask_b32_e32 v3, v51, v37, vcc_lo
	v_cndmask_b32_e32 v23, v52, v50, vcc_lo
	v_cndmask_b32_e64 v5, v3, v12, s8
	v_cndmask_b32_e64 v3, v23, v3, s8
	v_cndmask_b32_e32 v23, v37, v32, vcc_lo
	v_cndmask_b32_e64 v3, v3, v5, s10
	v_cndmask_b32_e64 v12, v12, v23, s8
	;; [unrolled: 1-line block ×3, first 2 shown]
	v_cmp_gt_f32_e64 s8, 0x48000000, |v73|
	v_cndmask_b32_e64 v5, v5, v12, s10
	v_cndmask_b32_e64 v12, v12, v23, s10
	;; [unrolled: 1-line block ×3, first 2 shown]
	v_alignbit_b32 v27, v3, v5, v0
	v_cndmask_b32_e64 v3, v27, v3, s12
	v_alignbit_b32 v27, v5, v12, v0
	v_alignbit_b32 v0, v12, v11, v0
	v_bfe_i32 v30, v3, 29, 1
	v_cndmask_b32_e64 v5, v27, v5, s12
	v_cndmask_b32_e64 v0, v0, v12, s12
	v_lshrrev_b32_e32 v29, 29, v3
	v_alignbit_b32 v27, v3, v5, 30
	v_alignbit_b32 v5, v5, v0, 30
	;; [unrolled: 1-line block ×3, first 2 shown]
	v_xor_b32_e32 v27, v27, v30
	v_xor_b32_e32 v5, v5, v30
	;; [unrolled: 1-line block ×3, first 2 shown]
	v_ffbh_u32_e32 v12, v27
	v_min_u32_e32 v12, 32, v12
	v_sub_nc_u32_e32 v23, 31, v12
	v_alignbit_b32 v26, v27, v5, v23
	v_alignbit_b32 v0, v5, v0, v23
	;; [unrolled: 1-line block ×3, first 2 shown]
	v_ffbh_u32_e32 v11, v5
	v_min_u32_e32 v11, 32, v11
	v_not_b32_e32 v23, v11
	v_add_lshl_u32 v11, v11, v12, 23
	v_lshlrev_b32_e32 v12, 23, v12
	v_alignbit_b32 v0, v5, v0, v23
	v_lshlrev_b32_e32 v5, 31, v29
	v_lshrrev_b32_e32 v0, 9, v0
	v_or_b32_e32 v23, 0x33000000, v5
	v_or_b32_e32 v5, 0.5, v5
	v_sub_nc_u32_e32 v11, v23, v11
	v_sub_nc_u32_e32 v5, v5, v12
	v_or_b32_e32 v0, v11, v0
	v_lshrrev_b32_e32 v11, 9, v26
	v_or_b32_e32 v5, v11, v5
	v_mul_f32_e32 v11, 0x3fc90fda, v5
	v_fma_f32 v12, 0x3fc90fda, v5, -v11
	v_fmac_f32_e32 v12, 0x33a22168, v5
	v_fmac_f32_e32 v12, 0x3fc90fda, v0
	v_lshrrev_b32_e32 v0, 30, v3
	v_add_f32_e32 v86, v11, v12
	v_add_nc_u32_e32 v87, v29, v0
	v_mul_f32_e64 v0, 0x3f22f983, |v75|
	v_rndne_f32_e32 v0, v0
	v_fma_f32 v88, 0xbfc90fda, v0, |v75|
	v_cvt_i32_f32_e32 v89, v0
	v_fmac_f32_e32 v88, 0xb3a22168, v0
	v_fmac_f32_e32 v88, 0xa7c234c4, v0
	v_lshrrev_b32_e32 v0, 23, v74
	v_add_nc_u32_e32 v0, 0xffffff88, v0
	v_cmp_lt_u32_e32 vcc_lo, 63, v0
	v_cndmask_b32_e64 v3, 0, 0xffffffc0, vcc_lo
	v_add_nc_u32_e32 v0, v3, v0
	v_cmp_lt_u32_e64 s10, 31, v0
	v_cndmask_b32_e64 v3, 0, 0xffffffe0, s10
	v_add_nc_u32_e32 v0, v3, v0
	v_cmp_lt_u32_e64 s12, 31, v0
	v_cndmask_b32_e64 v3, 0, 0xffffffe0, s12
	v_add_nc_u32_e32 v0, v3, v0
	v_and_or_b32 v3, v74, s47, 0x800000
	v_cmp_eq_u32_e64 s15, 0, v0
	v_mad_u64_u32 v[11:12], null, 0xfe5163ab, v3, 0
	v_sub_nc_u32_e32 v0, 32, v0
	v_mov_b32_e32 v5, v12
	v_mad_u64_u32 v[26:27], null, 0x3c439041, v3, v[5:6]
	v_mov_b32_e32 v5, v27
	v_mad_u64_u32 v[32:33], null, 0xdb629599, v3, v[5:6]
	v_mov_b32_e32 v5, v33
	v_cndmask_b32_e32 v11, v32, v11, vcc_lo
	v_mad_u64_u32 v[36:37], null, 0xf534ddc0, v3, v[5:6]
	v_mov_b32_e32 v5, v37
	v_cndmask_b32_e32 v26, v36, v26, vcc_lo
	v_mad_u64_u32 v[37:38], null, 0xfc2757d1, v3, v[5:6]
	v_cndmask_b32_e64 v11, v26, v11, s10
	v_mov_b32_e32 v5, v38
	v_mad_u64_u32 v[50:51], null, 0x4e441529, v3, v[5:6]
	v_mov_b32_e32 v5, v51
	v_cndmask_b32_e32 v12, v50, v36, vcc_lo
	v_mad_u64_u32 v[51:52], null, 0xa2f9836e, v3, v[5:6]
	v_cndmask_b32_e32 v3, v51, v37, vcc_lo
	v_cndmask_b32_e32 v23, v52, v50, vcc_lo
	v_add_f32_e32 v51, v22, v22
	v_cndmask_b32_e64 v5, v3, v12, s10
	v_cndmask_b32_e64 v3, v23, v3, s10
	v_cndmask_b32_e32 v23, v37, v32, vcc_lo
	v_cmp_le_f32_e32 vcc_lo, 0, v22
	v_cndmask_b32_e64 v3, v3, v5, s12
	v_cndmask_b32_e64 v12, v12, v23, s10
	;; [unrolled: 1-line block ×3, first 2 shown]
	v_cmp_class_f32_e64 s10, v73, 0x1f8
	v_cndmask_b32_e64 v5, v5, v12, s12
	v_cndmask_b32_e64 v12, v12, v23, s12
	;; [unrolled: 1-line block ×3, first 2 shown]
	v_alignbit_b32 v27, v3, v5, v0
	v_cndmask_b32_e64 v3, v27, v3, s15
	v_alignbit_b32 v27, v5, v12, v0
	v_alignbit_b32 v0, v12, v11, v0
	v_bfe_i32 v30, v3, 29, 1
	v_cndmask_b32_e64 v5, v27, v5, s15
	v_cndmask_b32_e64 v0, v0, v12, s15
	v_lshrrev_b32_e32 v29, 29, v3
	v_alignbit_b32 v27, v3, v5, 30
	v_alignbit_b32 v5, v5, v0, 30
	;; [unrolled: 1-line block ×3, first 2 shown]
	v_xor_b32_e32 v27, v27, v30
	v_xor_b32_e32 v5, v5, v30
	;; [unrolled: 1-line block ×3, first 2 shown]
	v_ffbh_u32_e32 v12, v27
	v_min_u32_e32 v12, 32, v12
	v_sub_nc_u32_e32 v23, 31, v12
	v_alignbit_b32 v26, v27, v5, v23
	v_alignbit_b32 v0, v5, v0, v23
	;; [unrolled: 1-line block ×3, first 2 shown]
	v_ffbh_u32_e32 v11, v5
	v_min_u32_e32 v11, 32, v11
	v_not_b32_e32 v23, v11
	v_add_lshl_u32 v11, v11, v12, 23
	v_lshlrev_b32_e32 v12, 23, v12
	v_alignbit_b32 v0, v5, v0, v23
	v_lshlrev_b32_e32 v5, 31, v29
	v_lshrrev_b32_e32 v0, 9, v0
	v_or_b32_e32 v23, 0x33000000, v5
	v_or_b32_e32 v5, 0.5, v5
	v_sub_nc_u32_e32 v11, v23, v11
	v_sub_nc_u32_e32 v5, v5, v12
	v_or_b32_e32 v0, v11, v0
	v_lshrrev_b32_e32 v11, 9, v26
	v_or_b32_e32 v5, v11, v5
	v_mul_f32_e32 v11, 0x3fc90fda, v5
	v_fma_f32 v12, 0x3fc90fda, v5, -v11
	v_fmac_f32_e32 v12, 0x33a22168, v5
	v_fmac_f32_e32 v12, 0x3fc90fda, v0
	v_lshrrev_b32_e32 v0, 30, v3
	v_add_f32_e32 v77, v11, v12
	v_add_nc_u32_e32 v78, v29, v0
	v_mul_f32_e64 v0, 0x3f22f983, |v73|
	v_rndne_f32_e32 v0, v0
	v_fma_f32 v79, 0xbfc90fda, v0, |v73|
	v_cvt_i32_f32_e32 v80, v0
	v_fmac_f32_e32 v79, 0xb3a22168, v0
	v_fmac_f32_e32 v79, 0xa7c234c4, v0
	v_cndmask_b32_e64 v0, 0, 2, vcc_lo
	v_cmp_le_f32_e32 vcc_lo, 0, v21
	v_cndmask_b32_e64 v3, 0, 1, vcc_lo
	v_cmp_gt_f32_e32 vcc_lo, 0xf800000, v42
	v_or_b32_e32 v50, v0, v3
	v_mul_f32_e32 v0, 0x4f800000, v42
	v_cndmask_b32_e32 v0, v42, v0, vcc_lo
	v_sqrt_f32_e32 v3, v0
	v_add_nc_u32_e32 v5, -1, v3
	v_fma_f32 v11, -v5, v3, v0
	v_cmp_ge_f32_e64 s12, 0, v11
	v_add_nc_u32_e32 v11, 1, v3
	v_cndmask_b32_e64 v5, v3, v5, s12
	v_fma_f32 v3, -v11, v3, v0
	v_cmp_lt_f32_e64 s12, 0, v3
	v_cndmask_b32_e64 v3, v5, v11, s12
	v_cmp_gt_f32_e64 s12, 0x48000000, |v81|
	v_mul_f32_e32 v5, 0x37800000, v3
	v_cndmask_b32_e32 v3, v3, v5, vcc_lo
	v_cmp_class_f32_e64 vcc_lo, v0, 0x260
	v_cndmask_b32_e32 v53, v3, v0, vcc_lo
	v_lshrrev_b32_e32 v0, 23, v82
	v_add_nc_u32_e32 v0, 0xffffff88, v0
	v_cmp_lt_u32_e32 vcc_lo, 63, v0
	v_cndmask_b32_e64 v3, 0, 0xffffffc0, vcc_lo
	v_add_nc_u32_e32 v0, v3, v0
	v_cmp_lt_u32_e64 s15, 31, v0
	v_cndmask_b32_e64 v3, 0, 0xffffffe0, s15
	v_add_nc_u32_e32 v0, v3, v0
	v_cmp_lt_u32_e64 s17, 31, v0
	v_cndmask_b32_e64 v3, 0, 0xffffffe0, s17
	v_add_nc_u32_e32 v0, v3, v0
	v_and_or_b32 v3, v82, s47, 0x800000
	v_cmp_eq_u32_e64 s18, 0, v0
	v_mad_u64_u32 v[11:12], null, 0xfe5163ab, v3, 0
	v_sub_nc_u32_e32 v0, 32, v0
	v_mov_b32_e32 v5, v12
	v_mad_u64_u32 v[26:27], null, 0x3c439041, v3, v[5:6]
	v_mov_b32_e32 v5, v27
	v_mad_u64_u32 v[32:33], null, 0xdb629599, v3, v[5:6]
	v_mov_b32_e32 v5, v33
	v_cndmask_b32_e32 v11, v32, v11, vcc_lo
	v_mad_u64_u32 v[36:37], null, 0xf534ddc0, v3, v[5:6]
	v_mov_b32_e32 v5, v37
	v_cndmask_b32_e32 v26, v36, v26, vcc_lo
	v_mad_u64_u32 v[37:38], null, 0xfc2757d1, v3, v[5:6]
	v_cndmask_b32_e64 v11, v26, v11, s15
	v_mov_b32_e32 v5, v38
	v_mad_u64_u32 v[55:56], null, 0x4e441529, v3, v[5:6]
	v_mov_b32_e32 v5, v56
	v_cndmask_b32_e32 v12, v55, v36, vcc_lo
	v_mad_u64_u32 v[58:59], null, 0xa2f9836e, v3, v[5:6]
	v_cndmask_b32_e32 v3, v58, v37, vcc_lo
	v_cndmask_b32_e32 v23, v59, v55, vcc_lo
	v_cndmask_b32_e64 v5, v3, v12, s15
	v_cndmask_b32_e64 v3, v23, v3, s15
	v_cndmask_b32_e32 v23, v37, v32, vcc_lo
	v_cndmask_b32_e64 v3, v3, v5, s17
	v_cndmask_b32_e64 v12, v12, v23, s15
	;; [unrolled: 1-line block ×3, first 2 shown]
	v_cmp_class_f32_e64 s15, v81, 0x1f8
	v_cndmask_b32_e64 v5, v5, v12, s17
	v_cndmask_b32_e64 v12, v12, v23, s17
	;; [unrolled: 1-line block ×3, first 2 shown]
	v_cmp_gt_f32_e64 s17, 0x48000000, |v96|
	v_alignbit_b32 v27, v3, v5, v0
	v_cndmask_b32_e64 v3, v27, v3, s18
	v_alignbit_b32 v27, v5, v12, v0
	v_alignbit_b32 v0, v12, v11, v0
	v_bfe_u32 v30, v3, 29, 1
	v_cndmask_b32_e64 v5, v27, v5, s18
	v_cndmask_b32_e64 v0, v0, v12, s18
	v_lshrrev_b32_e32 v29, 29, v3
	v_sub_nc_u32_e32 v33, 0, v30
	v_alignbit_b32 v27, v3, v5, 30
	v_alignbit_b32 v5, v5, v0, 30
	;; [unrolled: 1-line block ×3, first 2 shown]
	v_xor_b32_e32 v27, v27, v33
	v_xor_b32_e32 v5, v5, v33
	;; [unrolled: 1-line block ×3, first 2 shown]
	v_ffbh_u32_e32 v12, v27
	v_min_u32_e32 v12, 32, v12
	v_sub_nc_u32_e32 v23, 31, v12
	v_alignbit_b32 v26, v27, v5, v23
	v_alignbit_b32 v0, v5, v0, v23
	;; [unrolled: 1-line block ×3, first 2 shown]
	v_ffbh_u32_e32 v11, v5
	v_min_u32_e32 v11, 32, v11
	v_not_b32_e32 v23, v11
	v_add_lshl_u32 v11, v11, v12, 23
	v_lshlrev_b32_e32 v12, 23, v12
	v_alignbit_b32 v0, v5, v0, v23
	v_lshlrev_b32_e32 v5, 31, v29
	v_lshrrev_b32_e32 v0, 9, v0
	v_or_b32_e32 v23, 0x33000000, v5
	v_or_b32_e32 v5, 0.5, v5
	v_sub_nc_u32_e32 v11, v23, v11
	v_sub_nc_u32_e32 v5, v5, v12
	v_or_b32_e32 v0, v11, v0
	v_lshrrev_b32_e32 v11, 9, v26
	v_or_b32_e32 v5, v11, v5
	v_mul_f32_e32 v11, 0x3fc90fda, v5
	v_fma_f32 v12, 0x3fc90fda, v5, -v11
	v_fmac_f32_e32 v12, 0x33a22168, v5
	v_fmac_f32_e32 v12, 0x3fc90fda, v0
	v_lshrrev_b32_e32 v0, 30, v3
	v_add_f32_e32 v90, v11, v12
	v_add_nc_u32_e32 v91, v30, v0
	v_mul_f32_e64 v0, 0x3f22f983, |v81|
	v_rndne_f32_e32 v0, v0
	v_fma_f32 v92, 0xbfc90fda, v0, |v81|
	v_cvt_i32_f32_e32 v93, v0
	v_fmac_f32_e32 v92, 0xb3a22168, v0
	v_fmac_f32_e32 v92, 0xa7c234c4, v0
	v_lshrrev_b32_e32 v0, 23, v97
	v_add_nc_u32_e32 v0, 0xffffff88, v0
	v_cmp_lt_u32_e32 vcc_lo, 63, v0
	v_cndmask_b32_e64 v3, 0, 0xffffffc0, vcc_lo
	v_add_nc_u32_e32 v0, v3, v0
	v_cmp_lt_u32_e64 s18, 31, v0
	v_cndmask_b32_e64 v3, 0, 0xffffffe0, s18
	v_add_nc_u32_e32 v0, v3, v0
	v_cmp_lt_u32_e64 s20, 31, v0
	v_cndmask_b32_e64 v3, 0, 0xffffffe0, s20
	v_add_nc_u32_e32 v0, v3, v0
	v_and_or_b32 v3, v97, s47, 0x800000
	v_cmp_eq_u32_e64 s21, 0, v0
	v_mad_u64_u32 v[11:12], null, 0xfe5163ab, v3, 0
	v_sub_nc_u32_e32 v0, 32, v0
	v_mov_b32_e32 v5, v12
	v_mad_u64_u32 v[26:27], null, 0x3c439041, v3, v[5:6]
	v_mov_b32_e32 v5, v27
	v_mad_u64_u32 v[32:33], null, 0xdb629599, v3, v[5:6]
	v_mov_b32_e32 v5, v33
	v_cndmask_b32_e32 v11, v32, v11, vcc_lo
	v_mad_u64_u32 v[36:37], null, 0xf534ddc0, v3, v[5:6]
	v_mov_b32_e32 v5, v37
	v_cndmask_b32_e32 v26, v36, v26, vcc_lo
	v_mad_u64_u32 v[37:38], null, 0xfc2757d1, v3, v[5:6]
	v_cndmask_b32_e64 v11, v26, v11, s18
	v_mov_b32_e32 v5, v38
	v_mad_u64_u32 v[55:56], null, 0x4e441529, v3, v[5:6]
	v_mov_b32_e32 v5, v56
	v_cndmask_b32_e32 v12, v55, v36, vcc_lo
	v_mad_u64_u32 v[58:59], null, 0xa2f9836e, v3, v[5:6]
	v_cndmask_b32_e32 v3, v58, v37, vcc_lo
	v_cndmask_b32_e32 v23, v59, v55, vcc_lo
	v_cndmask_b32_e64 v5, v3, v12, s18
	v_cndmask_b32_e64 v3, v23, v3, s18
	v_cndmask_b32_e32 v23, v37, v32, vcc_lo
	v_cndmask_b32_e64 v3, v3, v5, s20
	v_cndmask_b32_e64 v12, v12, v23, s18
	;; [unrolled: 1-line block ×3, first 2 shown]
	v_cmp_class_f32_e64 s18, v96, 0x1f8
	v_cndmask_b32_e64 v5, v5, v12, s20
	v_cndmask_b32_e64 v12, v12, v23, s20
	;; [unrolled: 1-line block ×3, first 2 shown]
	v_cmp_gt_f32_e64 s20, 0x48000000, |v42|
	v_alignbit_b32 v27, v3, v5, v0
	v_cndmask_b32_e64 v3, v27, v3, s21
	v_alignbit_b32 v27, v5, v12, v0
	v_alignbit_b32 v0, v12, v11, v0
	v_bfe_u32 v30, v3, 29, 1
	v_cndmask_b32_e64 v5, v27, v5, s21
	v_cndmask_b32_e64 v0, v0, v12, s21
	v_lshrrev_b32_e32 v29, 29, v3
	v_sub_nc_u32_e32 v33, 0, v30
	v_alignbit_b32 v27, v3, v5, 30
	v_alignbit_b32 v5, v5, v0, 30
	;; [unrolled: 1-line block ×3, first 2 shown]
	v_xor_b32_e32 v27, v27, v33
	v_xor_b32_e32 v5, v5, v33
	v_xor_b32_e32 v0, v0, v33
	v_ffbh_u32_e32 v12, v27
	v_min_u32_e32 v12, 32, v12
	v_sub_nc_u32_e32 v23, 31, v12
	v_alignbit_b32 v26, v27, v5, v23
	v_alignbit_b32 v0, v5, v0, v23
	;; [unrolled: 1-line block ×3, first 2 shown]
	v_ffbh_u32_e32 v11, v5
	v_min_u32_e32 v11, 32, v11
	v_not_b32_e32 v23, v11
	v_add_lshl_u32 v11, v11, v12, 23
	v_lshlrev_b32_e32 v12, 23, v12
	v_alignbit_b32 v0, v5, v0, v23
	v_lshlrev_b32_e32 v5, 31, v29
	v_lshrrev_b32_e32 v0, 9, v0
	v_or_b32_e32 v23, 0x33000000, v5
	v_or_b32_e32 v5, 0.5, v5
	v_sub_nc_u32_e32 v11, v23, v11
	v_sub_nc_u32_e32 v5, v5, v12
	v_or_b32_e32 v0, v11, v0
	v_lshrrev_b32_e32 v11, 9, v26
	v_or_b32_e32 v5, v11, v5
	v_mul_f32_e32 v11, 0x3fc90fda, v5
	v_fma_f32 v12, 0x3fc90fda, v5, -v11
	v_fmac_f32_e32 v12, 0x33a22168, v5
	v_fmac_f32_e32 v12, 0x3fc90fda, v0
	v_lshrrev_b32_e32 v0, 30, v3
	v_add_f32_e32 v103, v11, v12
	v_add_nc_u32_e32 v104, v30, v0
	v_mul_f32_e64 v0, 0x3f22f983, |v96|
	v_rndne_f32_e32 v0, v0
	v_fma_f32 v105, 0xbfc90fda, v0, |v96|
	v_cvt_i32_f32_e32 v106, v0
	v_fmac_f32_e32 v105, 0xb3a22168, v0
	v_fmac_f32_e32 v105, 0xa7c234c4, v0
	v_lshrrev_b32_e32 v0, 23, v107
	v_add_nc_u32_e32 v0, 0xffffff88, v0
	v_cmp_lt_u32_e32 vcc_lo, 63, v0
	v_cndmask_b32_e64 v3, 0, 0xffffffc0, vcc_lo
	v_add_nc_u32_e32 v0, v3, v0
	v_cmp_lt_u32_e64 s21, 31, v0
	v_cndmask_b32_e64 v3, 0, 0xffffffe0, s21
	v_add_nc_u32_e32 v0, v3, v0
	v_cmp_lt_u32_e64 s22, 31, v0
	v_cndmask_b32_e64 v3, 0, 0xffffffe0, s22
	v_add_nc_u32_e32 v0, v3, v0
	v_and_or_b32 v3, v107, s47, 0x800000
	v_cmp_eq_u32_e64 s24, 0, v0
	v_mad_u64_u32 v[11:12], null, 0xfe5163ab, v3, 0
	v_sub_nc_u32_e32 v0, 32, v0
	v_mov_b32_e32 v5, v12
	v_mad_u64_u32 v[26:27], null, 0x3c439041, v3, v[5:6]
	v_mov_b32_e32 v5, v27
	v_mad_u64_u32 v[32:33], null, 0xdb629599, v3, v[5:6]
	v_mov_b32_e32 v5, v33
	v_cndmask_b32_e32 v11, v32, v11, vcc_lo
	v_mad_u64_u32 v[36:37], null, 0xf534ddc0, v3, v[5:6]
	v_mov_b32_e32 v5, v37
	v_cndmask_b32_e32 v26, v36, v26, vcc_lo
	v_mad_u64_u32 v[37:38], null, 0xfc2757d1, v3, v[5:6]
	v_cndmask_b32_e64 v11, v26, v11, s21
	v_mov_b32_e32 v5, v38
	v_mad_u64_u32 v[55:56], null, 0x4e441529, v3, v[5:6]
	v_mov_b32_e32 v5, v56
	v_cndmask_b32_e32 v12, v55, v36, vcc_lo
	v_mad_u64_u32 v[58:59], null, 0xa2f9836e, v3, v[5:6]
	v_cndmask_b32_e32 v3, v58, v37, vcc_lo
	v_cndmask_b32_e32 v23, v59, v55, vcc_lo
	v_cndmask_b32_e64 v5, v3, v12, s21
	v_cndmask_b32_e64 v3, v23, v3, s21
	v_cndmask_b32_e32 v23, v37, v32, vcc_lo
	v_cndmask_b32_e64 v3, v3, v5, s22
	v_cndmask_b32_e64 v12, v12, v23, s21
	;; [unrolled: 1-line block ×3, first 2 shown]
	v_cmp_class_f32_e64 s21, v42, 0x1f8
	v_cndmask_b32_e64 v5, v5, v12, s22
	v_cndmask_b32_e64 v12, v12, v23, s22
	;; [unrolled: 1-line block ×3, first 2 shown]
	v_cmp_gt_f32_e64 s22, 0x48000000, |v114|
	v_alignbit_b32 v27, v3, v5, v0
	v_cndmask_b32_e64 v3, v27, v3, s24
	v_alignbit_b32 v27, v5, v12, v0
	v_alignbit_b32 v0, v12, v11, v0
	v_bfe_u32 v30, v3, 29, 1
	v_cndmask_b32_e64 v5, v27, v5, s24
	v_cndmask_b32_e64 v0, v0, v12, s24
	v_lshrrev_b32_e32 v29, 29, v3
	v_sub_nc_u32_e32 v33, 0, v30
	v_alignbit_b32 v27, v3, v5, 30
	v_alignbit_b32 v5, v5, v0, 30
	;; [unrolled: 1-line block ×3, first 2 shown]
	v_xor_b32_e32 v27, v27, v33
	v_xor_b32_e32 v5, v5, v33
	;; [unrolled: 1-line block ×3, first 2 shown]
	v_ffbh_u32_e32 v12, v27
	v_min_u32_e32 v12, 32, v12
	v_sub_nc_u32_e32 v23, 31, v12
	v_alignbit_b32 v26, v27, v5, v23
	v_alignbit_b32 v0, v5, v0, v23
	v_alignbit_b32 v5, v26, v0, 9
	v_ffbh_u32_e32 v11, v5
	v_min_u32_e32 v11, 32, v11
	v_not_b32_e32 v23, v11
	v_add_lshl_u32 v11, v11, v12, 23
	v_lshlrev_b32_e32 v12, 23, v12
	v_alignbit_b32 v0, v5, v0, v23
	v_lshlrev_b32_e32 v5, 31, v29
	v_lshrrev_b32_e32 v0, 9, v0
	v_or_b32_e32 v23, 0x33000000, v5
	v_or_b32_e32 v5, 0.5, v5
	v_sub_nc_u32_e32 v11, v23, v11
	v_sub_nc_u32_e32 v5, v5, v12
	v_or_b32_e32 v0, v11, v0
	v_lshrrev_b32_e32 v11, 9, v26
	v_or_b32_e32 v5, v11, v5
	v_mul_f32_e32 v11, 0x3fc90fda, v5
	v_fma_f32 v12, 0x3fc90fda, v5, -v11
	v_fmac_f32_e32 v12, 0x33a22168, v5
	v_fmac_f32_e32 v12, 0x3fc90fda, v0
	v_lshrrev_b32_e32 v0, 30, v3
	v_add_f32_e32 v110, v11, v12
	v_add_nc_u32_e32 v111, v30, v0
	v_mul_f32_e64 v0, 0x3f22f983, |v42|
	v_rndne_f32_e32 v0, v0
	v_fma_f32 v112, 0xbfc90fda, v0, |v42|
	v_cvt_i32_f32_e32 v113, v0
	v_fmac_f32_e32 v112, 0xb3a22168, v0
	v_fmac_f32_e32 v112, 0xa7c234c4, v0
	v_div_scale_f32 v0, null, 0x40490fdb, 0x40490fdb, v19
	v_rcp_f32_e32 v3, v0
	v_fma_f32 v5, -v0, v3, 1.0
	v_fmac_f32_e32 v3, v5, v3
	v_div_scale_f32 v5, vcc_lo, v19, 0x40490fdb, v19
	v_mul_f32_e32 v11, v5, v3
	v_fma_f32 v12, -v0, v11, v5
	v_fmac_f32_e32 v11, v12, v3
	v_fma_f32 v0, -v0, v11, v5
	v_div_fmas_f32 v0, v0, v3, v11
	v_div_fixup_f32 v55, v0, 0x40490fdb, v19
	v_lshrrev_b32_e32 v0, 23, v115
	v_add_nc_u32_e32 v0, 0xffffff88, v0
	v_cmp_lt_u32_e32 vcc_lo, 63, v0
	v_cndmask_b32_e64 v3, 0, 0xffffffc0, vcc_lo
	v_add_nc_u32_e32 v0, v3, v0
	v_cmp_lt_u32_e64 s24, 31, v0
	v_cndmask_b32_e64 v3, 0, 0xffffffe0, s24
	v_add_nc_u32_e32 v0, v3, v0
	v_cmp_lt_u32_e64 s26, 31, v0
	v_cndmask_b32_e64 v3, 0, 0xffffffe0, s26
	v_add_nc_u32_e32 v0, v3, v0
	v_and_or_b32 v3, v115, s47, 0x800000
	v_cmp_eq_u32_e64 s27, 0, v0
	v_mad_u64_u32 v[11:12], null, 0xfe5163ab, v3, 0
	v_sub_nc_u32_e32 v0, 32, v0
	v_mov_b32_e32 v5, v12
	v_mad_u64_u32 v[26:27], null, 0x3c439041, v3, v[5:6]
	v_mov_b32_e32 v5, v27
	v_mad_u64_u32 v[32:33], null, 0xdb629599, v3, v[5:6]
	v_mov_b32_e32 v5, v33
	v_cndmask_b32_e32 v11, v32, v11, vcc_lo
	v_mad_u64_u32 v[36:37], null, 0xf534ddc0, v3, v[5:6]
	v_mov_b32_e32 v5, v37
	v_cndmask_b32_e32 v26, v36, v26, vcc_lo
	v_mad_u64_u32 v[37:38], null, 0xfc2757d1, v3, v[5:6]
	v_cndmask_b32_e64 v11, v26, v11, s24
	v_mov_b32_e32 v5, v38
	v_mad_u64_u32 v[58:59], null, 0x4e441529, v3, v[5:6]
	v_mov_b32_e32 v5, v59
	v_cndmask_b32_e32 v12, v58, v36, vcc_lo
	v_mad_u64_u32 v[118:119], null, 0xa2f9836e, v3, v[5:6]
	v_cndmask_b32_e32 v3, v118, v37, vcc_lo
	v_cndmask_b32_e32 v23, v119, v58, vcc_lo
	v_cndmask_b32_e64 v5, v3, v12, s24
	v_cndmask_b32_e64 v3, v23, v3, s24
	v_cndmask_b32_e32 v23, v37, v32, vcc_lo
	v_cndmask_b32_e64 v3, v3, v5, s26
	v_cndmask_b32_e64 v12, v12, v23, s24
	;; [unrolled: 1-line block ×3, first 2 shown]
	v_cmp_class_f32_e64 s24, v114, 0x1f8
	v_cndmask_b32_e64 v5, v5, v12, s26
	v_cndmask_b32_e64 v12, v12, v23, s26
	;; [unrolled: 1-line block ×3, first 2 shown]
	v_cmp_gt_f32_e64 s26, 0x48000000, |v126|
	v_alignbit_b32 v27, v3, v5, v0
	v_cndmask_b32_e64 v3, v27, v3, s27
	v_alignbit_b32 v27, v5, v12, v0
	v_alignbit_b32 v0, v12, v11, v0
	v_bfe_u32 v30, v3, 29, 1
	v_cndmask_b32_e64 v5, v27, v5, s27
	v_cndmask_b32_e64 v0, v0, v12, s27
	v_lshrrev_b32_e32 v29, 29, v3
	v_sub_nc_u32_e32 v33, 0, v30
	v_alignbit_b32 v27, v3, v5, 30
	v_alignbit_b32 v5, v5, v0, 30
	v_alignbit_b32 v0, v0, v11, 30
	v_xor_b32_e32 v27, v27, v33
	v_xor_b32_e32 v5, v5, v33
	;; [unrolled: 1-line block ×3, first 2 shown]
	v_ffbh_u32_e32 v12, v27
	v_min_u32_e32 v12, 32, v12
	v_sub_nc_u32_e32 v23, 31, v12
	v_alignbit_b32 v26, v27, v5, v23
	v_alignbit_b32 v0, v5, v0, v23
	;; [unrolled: 1-line block ×3, first 2 shown]
	v_ffbh_u32_e32 v11, v5
	v_min_u32_e32 v11, 32, v11
	v_not_b32_e32 v23, v11
	v_add_lshl_u32 v11, v11, v12, 23
	v_lshlrev_b32_e32 v12, 23, v12
	v_alignbit_b32 v0, v5, v0, v23
	v_lshlrev_b32_e32 v5, 31, v29
	v_lshrrev_b32_e32 v0, 9, v0
	v_or_b32_e32 v23, 0x33000000, v5
	v_or_b32_e32 v5, 0.5, v5
	v_sub_nc_u32_e32 v11, v23, v11
	v_sub_nc_u32_e32 v5, v5, v12
	v_or_b32_e32 v0, v11, v0
	v_lshrrev_b32_e32 v11, 9, v26
	v_or_b32_e32 v5, v11, v5
	v_mul_f32_e32 v11, 0x3fc90fda, v5
	v_fma_f32 v12, 0x3fc90fda, v5, -v11
	v_fmac_f32_e32 v12, 0x33a22168, v5
	v_fmac_f32_e32 v12, 0x3fc90fda, v0
	v_lshrrev_b32_e32 v0, 30, v3
	v_add_f32_e32 v118, v11, v12
	v_add_nc_u32_e32 v119, v30, v0
	v_mul_f32_e64 v0, 0x3f22f983, |v114|
	v_rndne_f32_e32 v0, v0
	v_fma_f32 v120, 0xbfc90fda, v0, |v114|
	v_cvt_i32_f32_e32 v121, v0
	v_fmac_f32_e32 v120, 0xb3a22168, v0
	v_fmac_f32_e32 v120, 0xa7c234c4, v0
	v_lshrrev_b32_e32 v0, 23, v127
	v_add_nc_u32_e32 v0, 0xffffff88, v0
	v_cmp_lt_u32_e32 vcc_lo, 63, v0
	v_cndmask_b32_e64 v3, 0, 0xffffffc0, vcc_lo
	v_add_nc_u32_e32 v0, v3, v0
	v_cmp_lt_u32_e64 s27, 31, v0
	v_cndmask_b32_e64 v3, 0, 0xffffffe0, s27
	v_add_nc_u32_e32 v0, v3, v0
	v_cmp_lt_u32_e64 s28, 31, v0
	v_cndmask_b32_e64 v3, 0, 0xffffffe0, s28
	v_add_nc_u32_e32 v0, v3, v0
	v_and_or_b32 v3, v127, s47, 0x800000
	v_cmp_eq_u32_e64 s29, 0, v0
	v_mad_u64_u32 v[11:12], null, 0xfe5163ab, v3, 0
	v_sub_nc_u32_e32 v0, 32, v0
	v_mov_b32_e32 v5, v12
	v_mad_u64_u32 v[26:27], null, 0x3c439041, v3, v[5:6]
	v_mov_b32_e32 v5, v27
	v_mad_u64_u32 v[32:33], null, 0xdb629599, v3, v[5:6]
	v_mov_b32_e32 v5, v33
	v_cndmask_b32_e32 v11, v32, v11, vcc_lo
	v_mad_u64_u32 v[36:37], null, 0xf534ddc0, v3, v[5:6]
	v_mov_b32_e32 v5, v37
	v_cndmask_b32_e32 v26, v36, v26, vcc_lo
	v_mad_u64_u32 v[37:38], null, 0xfc2757d1, v3, v[5:6]
	v_cndmask_b32_e64 v11, v26, v11, s27
	v_mov_b32_e32 v5, v38
	v_mad_u64_u32 v[58:59], null, 0x4e441529, v3, v[5:6]
	v_mov_b32_e32 v5, v59
	v_cndmask_b32_e32 v12, v58, v36, vcc_lo
	v_mad_u64_u32 v[43:44], null, 0xa2f9836e, v3, v[5:6]
	v_cndmask_b32_e32 v3, v43, v37, vcc_lo
	v_cndmask_b32_e32 v23, v44, v58, vcc_lo
	v_cndmask_b32_e64 v5, v3, v12, s27
	v_cndmask_b32_e64 v3, v23, v3, s27
	v_cndmask_b32_e32 v23, v37, v32, vcc_lo
	v_cndmask_b32_e64 v3, v3, v5, s28
	v_cndmask_b32_e64 v12, v12, v23, s27
	v_cndmask_b32_e64 v23, v23, v26, s27
	v_cmp_class_f32_e64 s27, v126, 0x1f8
	v_cndmask_b32_e64 v5, v5, v12, s28
	v_cndmask_b32_e64 v12, v12, v23, s28
	v_cndmask_b32_e64 v11, v23, v11, s28
	v_cmp_gt_f32_e64 s28, 0x48000000, |v20|
	v_alignbit_b32 v27, v3, v5, v0
	v_cndmask_b32_e64 v3, v27, v3, s29
	v_alignbit_b32 v27, v5, v12, v0
	v_alignbit_b32 v0, v12, v11, v0
	v_bfe_u32 v30, v3, 29, 1
	v_cndmask_b32_e64 v5, v27, v5, s29
	v_cndmask_b32_e64 v0, v0, v12, s29
	v_lshrrev_b32_e32 v29, 29, v3
	v_sub_nc_u32_e32 v33, 0, v30
	v_alignbit_b32 v27, v3, v5, 30
	v_alignbit_b32 v5, v5, v0, 30
	;; [unrolled: 1-line block ×3, first 2 shown]
	v_xor_b32_e32 v27, v27, v33
	v_xor_b32_e32 v5, v5, v33
	;; [unrolled: 1-line block ×3, first 2 shown]
	v_ffbh_u32_e32 v12, v27
	v_min_u32_e32 v12, 32, v12
	v_sub_nc_u32_e32 v23, 31, v12
	v_alignbit_b32 v26, v27, v5, v23
	v_alignbit_b32 v0, v5, v0, v23
	;; [unrolled: 1-line block ×3, first 2 shown]
	v_ffbh_u32_e32 v11, v5
	v_min_u32_e32 v11, 32, v11
	v_not_b32_e32 v23, v11
	v_add_lshl_u32 v11, v11, v12, 23
	v_lshlrev_b32_e32 v12, 23, v12
	v_alignbit_b32 v0, v5, v0, v23
	v_lshlrev_b32_e32 v5, 31, v29
	v_lshrrev_b32_e32 v0, 9, v0
	v_or_b32_e32 v23, 0x33000000, v5
	v_or_b32_e32 v5, 0.5, v5
	v_sub_nc_u32_e32 v11, v23, v11
	v_sub_nc_u32_e32 v5, v5, v12
	v_or_b32_e32 v0, v11, v0
	v_lshrrev_b32_e32 v11, 9, v26
	v_or_b32_e32 v5, v11, v5
	v_mul_f32_e32 v11, 0x3fc90fda, v5
	v_fma_f32 v12, 0x3fc90fda, v5, -v11
	v_fmac_f32_e32 v12, 0x33a22168, v5
	v_fmac_f32_e32 v12, 0x3fc90fda, v0
	v_lshrrev_b32_e32 v0, 30, v3
	v_add_f32_e32 v3, v22, v21
	v_add_f32_e32 v23, v11, v12
	v_add_nc_u32_e32 v26, v30, v0
	v_mul_f32_e64 v0, 0x3f22f983, |v126|
	v_and_b32_e32 v11, 0x7fffffff, v20
	v_rndne_f32_e32 v0, v0
	v_fma_f32 v27, 0xbfc90fda, v0, |v126|
	v_cvt_i32_f32_e32 v52, v0
	v_fmac_f32_e32 v27, 0xb3a22168, v0
	v_cndmask_b32_e64 v26, v26, v52, s26
	v_mul_f32_e32 v52, 0.5, v24
	v_fmac_f32_e32 v27, 0xa7c234c4, v0
	v_sub_f32_e32 v0, v22, v21
	v_cndmask_b32_e64 v23, v23, v27, s26
	v_mul_f32_e32 v0, v0, v3
	v_mul_f32_e32 v27, v23, v23
	;; [unrolled: 1-line block ×5, first 2 shown]
	v_lshrrev_b32_e32 v0, 23, v11
	v_add_nc_u32_e32 v0, 0xffffff88, v0
	v_cmp_lt_u32_e32 vcc_lo, 63, v0
	v_cndmask_b32_e64 v3, 0, 0xffffffc0, vcc_lo
	v_add_nc_u32_e32 v0, v3, v0
	v_cmp_lt_u32_e64 s29, 31, v0
	v_cndmask_b32_e64 v3, 0, 0xffffffe0, s29
	v_add_nc_u32_e32 v0, v3, v0
	v_cmp_lt_u32_e64 s30, 31, v0
	v_cndmask_b32_e64 v3, 0, 0xffffffe0, s30
	v_add_nc_u32_e32 v0, v3, v0
	v_and_or_b32 v3, v11, s47, 0x800000
	v_cmp_eq_u32_e64 s31, 0, v0
	v_mad_u64_u32 v[32:33], null, 0xfe5163ab, v3, 0
	v_sub_nc_u32_e32 v0, 32, v0
	v_mov_b32_e32 v5, v33
	v_mad_u64_u32 v[36:37], null, 0x3c439041, v3, v[5:6]
	v_mov_b32_e32 v5, v37
	v_mad_u64_u32 v[37:38], null, 0xdb629599, v3, v[5:6]
	v_mov_b32_e32 v5, v38
	v_cndmask_b32_e32 v32, v37, v32, vcc_lo
	v_mad_u64_u32 v[43:44], null, 0xf534ddc0, v3, v[5:6]
	v_mov_b32_e32 v5, v44
	v_mad_u64_u32 v[58:59], null, 0xfc2757d1, v3, v[5:6]
	v_mov_b32_e32 v5, v59
	;; [unrolled: 2-line block ×3, first 2 shown]
	v_cndmask_b32_e32 v12, v29, v43, vcc_lo
	v_mad_u64_u32 v[44:45], null, 0xa2f9836e, v3, v[5:6]
	v_cndmask_b32_e32 v3, v44, v58, vcc_lo
	v_cndmask_b32_e32 v29, v45, v29, vcc_lo
	v_cndmask_b32_e64 v5, v3, v12, s29
	v_cndmask_b32_e64 v3, v29, v3, s29
	v_cndmask_b32_e32 v29, v58, v37, vcc_lo
	v_cndmask_b32_e64 v3, v3, v5, s30
	v_cndmask_b32_e64 v12, v12, v29, s29
	;; [unrolled: 1-line block ×3, first 2 shown]
	v_alignbit_b32 v30, v3, v5, v0
	v_cndmask_b32_e64 v3, v30, v3, s31
	v_cndmask_b32_e32 v30, v43, v36, vcc_lo
	v_bfe_u32 v38, v3, 29, 1
	v_cndmask_b32_e64 v29, v29, v30, s29
	v_cndmask_b32_e64 v30, v30, v32, s29
	v_lshrrev_b32_e32 v36, 29, v3
	v_cmp_class_f32_e64 s29, v20, 0x1f8
	v_sub_nc_u32_e32 v43, 0, v38
	v_cndmask_b32_e64 v12, v12, v29, s30
	v_cndmask_b32_e64 v29, v29, v30, s30
	v_alignbit_b32 v33, v5, v12, v0
	v_alignbit_b32 v0, v12, v29, v0
	v_cndmask_b32_e64 v5, v33, v5, s31
	v_cndmask_b32_e64 v0, v0, v12, s31
	v_alignbit_b32 v33, v3, v5, 30
	v_alignbit_b32 v5, v5, v0, 30
	;; [unrolled: 1-line block ×3, first 2 shown]
	v_xor_b32_e32 v33, v33, v43
	v_xor_b32_e32 v5, v5, v43
	;; [unrolled: 1-line block ×3, first 2 shown]
	v_ffbh_u32_e32 v12, v33
	v_min_u32_e32 v12, 32, v12
	v_sub_nc_u32_e32 v30, 31, v12
	v_alignbit_b32 v32, v33, v5, v30
	v_alignbit_b32 v0, v5, v0, v30
	;; [unrolled: 1-line block ×3, first 2 shown]
	v_ffbh_u32_e32 v29, v5
	v_min_u32_e32 v29, 32, v29
	v_not_b32_e32 v30, v29
	v_add_lshl_u32 v29, v29, v12, 23
	v_lshlrev_b32_e32 v12, 23, v12
	v_alignbit_b32 v0, v5, v0, v30
	v_lshlrev_b32_e32 v5, 31, v36
	v_lshrrev_b32_e32 v0, 9, v0
	v_or_b32_e32 v30, 0x33000000, v5
	v_or_b32_e32 v5, 0.5, v5
	v_sub_nc_u32_e32 v29, v30, v29
	v_sub_nc_u32_e32 v5, v5, v12
	v_or_b32_e32 v0, v29, v0
	v_lshrrev_b32_e32 v29, 9, v32
	v_or_b32_e32 v5, v29, v5
	v_mul_f32_e32 v12, 0x3fc90fda, v5
	v_fma_f32 v29, 0x3fc90fda, v5, -v12
	v_fmac_f32_e32 v29, 0x33a22168, v5
	v_fmac_f32_e32 v29, 0x3fc90fda, v0
	v_lshrrev_b32_e32 v0, 30, v3
	v_add_f32_e32 v12, v12, v29
	v_add_nc_u32_e32 v32, v38, v0
	v_mul_f32_e64 v0, 0x3f22f983, |v20|
	v_rndne_f32_e32 v0, v0
	v_fma_f32 v33, 0xbfc90fda, v0, |v20|
	v_cvt_i32_f32_e32 v3, v0
	v_fmac_f32_e32 v33, 0xb3a22168, v0
	v_cndmask_b32_e64 v3, v32, v3, s28
	v_fmac_f32_e32 v33, 0xa7c234c4, v0
	v_div_scale_f32 v0, null, v20, v20, v22
	v_rcp_f32_e32 v5, v0
	v_fma_f32 v29, -v0, v5, 1.0
	v_fmac_f32_e32 v5, v29, v5
	v_div_scale_f32 v29, vcc_lo, v22, v20, v22
	v_mul_f32_e32 v30, v29, v5
	v_fma_f32 v36, -v0, v30, v29
	v_fmac_f32_e32 v30, v36, v5
	v_fma_f32 v0, -v0, v30, v29
	v_div_fmas_f32 v0, v0, v5, v30
	v_div_fixup_f32 v58, v0, v20, v22
	v_div_scale_f32 v0, null, v20, v20, v21
	v_rcp_f32_e32 v5, v0
	v_fma_f32 v29, -v0, v5, 1.0
	v_fmac_f32_e32 v5, v29, v5
	v_div_scale_f32 v29, vcc_lo, v21, v20, v21
	v_mul_f32_e32 v30, v29, v5
	v_fma_f32 v36, -v0, v30, v29
	v_fmac_f32_e32 v30, v36, v5
	v_fma_f32 v0, -v0, v30, v29
	v_div_fmas_f32 v0, v0, v5, v30
	v_cndmask_b32_e64 v5, v62, v65, s4
	v_div_fixup_f32 v59, v0, v20, v21
	v_cndmask_b32_e64 v0, v61, v63, s4
	v_mul_f32_e32 v29, v0, v0
	v_fmaak_f32 v30, s49, v29, 0x3c0881c4
	v_fmaak_f32 v30, v29, v30, 0xbe2aaa9d
	v_mul_f32_e32 v30, v29, v30
	v_fmac_f32_e32 v0, v0, v30
	v_fmaak_f32 v30, s50, v29, 0xbab64f3b
	v_fmaak_f32 v30, v29, v30, 0x3d2aabf7
	;; [unrolled: 1-line block ×3, first 2 shown]
	v_fma_f32 v29, v29, v30, 1.0
	v_and_b32_e32 v30, 1, v5
	v_lshlrev_b32_e32 v5, 30, v5
	v_cmp_eq_u32_e64 s4, 0, v30
	v_and_b32_e32 v5, 0x80000000, v5
	v_cndmask_b32_e64 v30, v29, v0, s4
	v_or_b32_e32 v36, v5, v60
	v_cndmask_b32_e64 v0, -v0, v29, s4
	v_xor3_b32 v30, v36, v22, v30
	v_cndmask_b32_e64 v36, v69, v66, s6
	v_xor_b32_e32 v0, v5, v0
	v_cndmask_b32_e64 v60, 0x7fc00000, v30, s5
	v_cndmask_b32_e64 v30, v68, v70, s6
	v_and_b32_e32 v44, 1, v36
	v_lshlrev_b32_e32 v36, 30, v36
	v_mul_f32_e32 v37, v30, v30
	v_cmp_eq_u32_e64 s30, 0, v44
	v_and_b32_e32 v36, 0x80000000, v36
	v_fmaak_f32 v38, s49, v37, 0x3c0881c4
	v_fmaak_f32 v43, s50, v37, 0xbab64f3b
	v_or_b32_e32 v5, v36, v64
	v_fmaak_f32 v38, v37, v38, 0xbe2aaa9d
	v_fmaak_f32 v43, v37, v43, 0x3d2aabf7
	v_mul_f32_e32 v38, v37, v38
	v_fmaak_f32 v43, v37, v43, 0xbf000004
	v_fma_f32 v38, v30, v38, v30
	v_fma_f32 v43, v37, v43, 1.0
	v_cndmask_b32_e64 v44, -v38, v43, s30
	v_xor_b32_e32 v44, v36, v44
	v_cndmask_b32_e64 v44, 0x7fc00000, v44, s7
	v_div_scale_f32 v45, null, v44, v44, v60
	v_rcp_f32_e32 v61, v45
	v_fma_f32 v62, -v45, v61, 1.0
	v_fmac_f32_e32 v61, v62, v61
	v_div_scale_f32 v62, vcc_lo, v60, v44, v60
	v_mul_f32_e32 v63, v62, v61
	v_fma_f32 v65, -v45, v63, v62
	v_fmac_f32_e32 v63, v65, v61
	v_fma_f32 v45, -v45, v63, v62
	v_fmaak_f32 v62, s51, v37, 0xbf039337
	v_div_fmas_f32 v45, v45, v61, v63
	v_fmaak_f32 v62, v37, v62, 0x3f93f425
	v_cndmask_b32_e64 v63, 0x7fc00000, v0, s5
	v_cndmask_b32_e64 v0, v43, v38, s30
	v_div_fixup_f32 v61, v45, v44, v60
	v_rcp_f32_e32 v62, v62
	v_fmaak_f32 v45, s34, v37, 0x3ec54587
	v_cndmask_b32_e64 v44, v67, v66, s6
	v_xor3_b32 v0, v5, v0, v21
	v_cndmask_b32_e64 v5, v83, v85, s9
	v_cndmask_b32_e64 v85, v103, v105, s17
	v_and_b32_e32 v44, 1, v44
	v_mul_f32_e32 v45, v45, v62
	v_cmp_eq_u32_e32 vcc_lo, 0, v44
	v_mul_f32_e32 v37, v37, v45
	v_fma_f32 v45, v37, v30, v30
	v_sub_f32_e32 v62, v45, v30
	v_fma_f32 v30, v37, v30, -v62
	v_rcp_f32_e32 v37, v45
	v_fma_f32 v62, v45, -v37, 1.0
	v_fma_f32 v30, v30, -v37, v62
	v_fma_f32 v30, v30, -v37, -v37
	v_cndmask_b32_e32 v30, v30, v45, vcc_lo
	v_xor3_b32 v30, v21, v30, v64
	v_cndmask_b32_e64 v64, 0x7fc00000, v0, s7
	v_cndmask_b32_e64 v0, v72, v84, s9
	;; [unrolled: 1-line block ×3, first 2 shown]
	v_mul_f32_e32 v29, v0, v0
	v_fmaak_f32 v30, s49, v29, 0x3c0881c4
	v_fmaak_f32 v30, v29, v30, 0xbe2aaa9d
	v_mul_f32_e32 v30, v29, v30
	v_fmac_f32_e32 v0, v0, v30
	v_fmaak_f32 v30, s50, v29, 0xbab64f3b
	v_fmaak_f32 v30, v29, v30, 0x3d2aabf7
	;; [unrolled: 1-line block ×3, first 2 shown]
	v_fma_f32 v29, v29, v30, 1.0
	v_and_b32_e32 v30, 1, v5
	v_lshlrev_b32_e32 v5, 30, v5
	v_cmp_eq_u32_e32 vcc_lo, 0, v30
	v_and_b32_e32 v5, 0x80000000, v5
	v_cndmask_b32_e64 v30, -v0, v29, vcc_lo
	v_cndmask_b32_e32 v0, v29, v0, vcc_lo
	v_xor_b32_e32 v30, v5, v30
	v_xor_b32_e32 v29, v0, v19
	v_cndmask_b32_e64 v65, 0x7fc00000, v30, s13
	v_xor3_b32 v29, v29, v71, v5
	v_cndmask_b32_e64 v30, v100, v102, s16
	v_or_b32_e32 v5, v5, v71
	v_cndmask_b32_e64 v66, 0x7fc00000, v29, s13
	v_cndmask_b32_e64 v29, v99, v101, s16
	v_xor3_b32 v0, v5, v19, v0
	v_mul_f32_e32 v36, v29, v29
	v_cndmask_b32_e64 v0, 0x7fc00000, v0, s13
	v_fmaak_f32 v37, s49, v36, 0x3c0881c4
	v_fmaak_f32 v37, v36, v37, 0xbe2aaa9d
	v_mul_f32_e32 v37, v36, v37
	v_fmac_f32_e32 v29, v29, v37
	v_fmaak_f32 v37, s50, v36, 0xbab64f3b
	v_fmaak_f32 v37, v36, v37, 0x3d2aabf7
	;; [unrolled: 1-line block ×3, first 2 shown]
	v_fma_f32 v36, v36, v37, 1.0
	v_and_b32_e32 v37, 1, v30
	v_lshlrev_b32_e32 v30, 30, v30
	v_cmp_eq_u32_e32 vcc_lo, 0, v37
	v_and_b32_e32 v30, 0x80000000, v30
	v_cndmask_b32_e64 v37, -v29, v36, vcc_lo
	v_cndmask_b32_e32 v29, v36, v29, vcc_lo
	v_cmp_neq_f32_e32 vcc_lo, 1.0, v42
	v_xor_b32_e32 v37, v30, v37
	v_xor_b32_e32 v29, v94, v29
	v_cndmask_b32_e32 v5, 1.0, v0, vcc_lo
	v_cndmask_b32_e64 v37, 0x7fc00000, v37, s19
	v_xor3_b32 v29, v29, v95, v30
	v_cmp_neq_f32_e32 vcc_lo, 0, v5
	v_cmp_neq_f32_e64 s5, v5, |v5|
	v_mul_f32_e32 v67, v37, v108
	v_cndmask_b32_e64 v29, 0xffc00000, -v29, s19
	v_cndmask_b32_e32 v36, 1.0, v42, vcc_lo
	v_mul_f32_e32 v68, v29, v109
	v_frexp_mant_f32_e64 v29, |v36|
	v_cmp_lt_f32_e64 s6, |v36|, 1.0
	v_cmp_gt_f32_e32 vcc_lo, 0x3f2aaaab, v29
	s_xor_b32 s5, s5, s6
	v_cmp_gt_f32_e64 s6, 0, v5
	v_cndmask_b32_e64 v30, 1.0, 2.0, vcc_lo
	v_mul_f32_e32 v29, v29, v30
	v_add_f32_e32 v37, 1.0, v29
	v_add_f32_e32 v30, -1.0, v29
	v_add_f32_e32 v38, -1.0, v37
	v_sub_f32_e32 v29, v29, v38
	v_rcp_f32_e32 v38, v37
	v_mul_f32_e32 v43, v30, v38
	v_mul_f32_e32 v44, v37, v43
	v_fma_f32 v37, v43, v37, -v44
	v_fmac_f32_e32 v37, v43, v29
	v_add_f32_e32 v29, v44, v37
	v_sub_f32_e32 v45, v30, v29
	v_sub_f32_e32 v44, v29, v44
	v_sub_f32_e32 v30, v30, v45
	v_sub_f32_e32 v29, v30, v29
	v_sub_f32_e32 v30, v44, v37
	v_add_f32_e32 v29, v30, v29
	v_add_f32_e32 v29, v45, v29
	v_mul_f32_e32 v29, v38, v29
	v_add_f32_e32 v37, v43, v29
	v_sub_f32_e32 v30, v37, v43
	v_sub_f32_e32 v38, v29, v30
	v_mul_f32_e32 v29, v37, v37
	v_add_f32_e32 v43, v38, v38
	v_fma_f32 v30, v37, v37, -v29
	v_fmac_f32_e32 v30, v37, v43
	v_add_f32_e32 v43, v29, v30
	v_sub_f32_e32 v29, v43, v29
	v_fmaak_f32 v44, s52, v43, 0x3e91f4c4
	v_sub_f32_e32 v29, v30, v29
	v_mul_f32_e32 v30, v37, v43
	v_fmaak_f32 v44, v43, v44, 0x3ecccdef
	v_fma_f32 v45, v43, v37, -v30
	v_fmac_f32_e32 v45, v43, v38
	v_fmac_f32_e32 v45, v29, v37
	v_ldexp_f32 v37, v37, 1
	v_add_f32_e32 v69, v30, v45
	v_sub_f32_e32 v30, v69, v30
	v_sub_f32_e32 v30, v45, v30
	v_mul_f32_e32 v45, v43, v44
	v_fma_f32 v43, v43, v44, -v45
	v_fmac_f32_e32 v43, v29, v44
	v_add_f32_e32 v29, v45, v43
	v_add_f32_e32 v44, 0x3f2aaaaa, v29
	v_sub_f32_e32 v45, v29, v45
	v_sub_f32_e32 v43, v43, v45
	v_add_f32_e32 v45, 0xbf2aaaaa, v44
	v_add_f32_e32 v43, 0x31739010, v43
	v_sub_f32_e32 v29, v29, v45
	v_add_f32_e32 v29, v43, v29
	v_add_f32_e32 v43, v44, v29
	v_sub_f32_e32 v44, v44, v43
	v_add_f32_e32 v29, v29, v44
	v_mul_f32_e32 v44, v69, v43
	v_fma_f32 v45, v69, v43, -v44
	v_fmac_f32_e32 v45, v69, v29
	v_fmac_f32_e32 v45, v30, v43
	v_cvt_f64_f32_e64 v[29:30], |v36|
	v_frexp_exp_i32_f64_e32 v29, v[29:30]
	v_subrev_co_ci_u32_e64 v29, null, 0, v29, vcc_lo
	v_cvt_f32_i32_e32 v29, v29
	v_mul_f32_e32 v30, 0x3f317218, v29
	v_fma_f32 v43, 0x3f317218, v29, -v30
	v_fmac_f32_e32 v43, 0xb102e308, v29
	v_ldexp_f32 v29, v38, 1
	v_add_f32_e32 v38, v30, v43
	v_sub_f32_e32 v30, v38, v30
	v_sub_f32_e32 v30, v43, v30
	v_add_f32_e32 v43, v44, v45
	v_sub_f32_e32 v44, v43, v44
	v_sub_f32_e32 v44, v45, v44
	v_add_f32_e32 v45, v37, v43
	v_add_f32_e32 v29, v29, v44
	v_sub_f32_e32 v37, v45, v37
	v_sub_f32_e32 v37, v43, v37
	v_add_f32_e32 v29, v29, v37
	;; [unrolled: 4-line block ×3, first 2 shown]
	v_sub_f32_e32 v44, v43, v38
	v_sub_f32_e32 v45, v43, v44
	;; [unrolled: 1-line block ×4, first 2 shown]
	v_add_f32_e32 v37, v37, v38
	v_add_f32_e32 v38, v30, v29
	v_sub_f32_e32 v44, v38, v30
	v_sub_f32_e32 v45, v38, v44
	;; [unrolled: 1-line block ×4, first 2 shown]
	v_add_f32_e32 v29, v29, v30
	v_add_f32_e32 v30, v38, v37
	v_add_f32_e32 v37, v43, v30
	v_sub_f32_e32 v38, v37, v43
	v_sub_f32_e32 v30, v30, v38
	v_add_f32_e32 v29, v29, v30
	v_add_f32_e32 v30, v37, v29
	v_sub_f32_e32 v37, v30, v37
	v_sub_f32_e32 v29, v29, v37
	v_mul_f32_e32 v37, v5, v30
	v_fma_f32 v30, v5, v30, -v37
	v_cmp_class_f32_e64 vcc_lo, v37, 0x204
	v_fmac_f32_e32 v30, v5, v29
	v_add_f32_e32 v29, v37, v30
	v_sub_f32_e32 v38, v29, v37
	v_cndmask_b32_e32 v29, v29, v37, vcc_lo
	v_sub_f32_e32 v30, v30, v38
	v_cmp_neq_f32_e64 vcc_lo, 0x7f800000, |v29|
	v_cndmask_b32_e32 v30, 0, v30, vcc_lo
	v_cmp_eq_f32_e32 vcc_lo, 0x42b17218, v29
	v_cndmask_b32_e64 v37, 0, 0x37000000, vcc_lo
	v_sub_f32_e32 v29, v29, v37
	v_add_f32_e32 v30, v37, v30
	v_mul_f32_e32 v37, 0x3fb8aa3b, v29
	v_cmp_ngt_f32_e32 vcc_lo, 0xc2ce8ed0, v29
	v_fma_f32 v38, 0x3fb8aa3b, v29, -v37
	v_rndne_f32_e32 v43, v37
	v_fmac_f32_e32 v38, 0x32a5705f, v29
	v_sub_f32_e32 v37, v37, v43
	v_add_f32_e32 v37, v37, v38
	v_cvt_i32_f32_e32 v38, v43
	v_exp_f32_e32 v37, v37
	v_ldexp_f32 v37, v37, v38
	v_cndmask_b32_e32 v37, 0, v37, vcc_lo
	v_cmp_nlt_f32_e32 vcc_lo, 0x42b17218, v29
	v_cndmask_b32_e32 v29, 0x7f800000, v37, vcc_lo
	v_fma_f32 v30, v29, v30, v29
	v_cmp_class_f32_e64 vcc_lo, v29, 0x204
	v_cndmask_b32_e32 v29, v30, v29, vcc_lo
	v_trunc_f32_e32 v30, v5
	v_cmp_eq_f32_e32 vcc_lo, v30, v5
	v_mul_f32_e32 v30, 0.5, v5
	v_trunc_f32_e32 v37, v30
	v_cmp_neq_f32_e64 s4, v37, v30
	s_and_b32 vcc_lo, vcc_lo, s4
	v_cmp_class_f32_e64 s4, v5, 0x204
	v_cndmask_b32_e32 v30, 1.0, v36, vcc_lo
	v_cndmask_b32_e32 v37, 0, v36, vcc_lo
	v_cmp_o_f32_e32 vcc_lo, v36, v5
	v_bfi_b32 v29, 0x7fffffff, v29, v30
	v_cndmask_b32_e64 v30, 0x7f800000, 0, s5
	v_cmp_neq_f32_e64 s5, |v36|, 1.0
	v_cndmask_b32_e64 v30, 1.0, v30, s5
	v_cmp_class_f32_e64 s5, v36, 0x204
	v_cndmask_b32_e64 v29, v29, v30, s4
	v_cmp_eq_f32_e64 s4, 0, v36
	s_or_b32 s5, s4, s5
	s_xor_b32 s4, s6, s4
	v_cndmask_b32_e64 v30, 0x7f800000, 0, s4
	v_bfi_b32 v30, 0x7fffffff, v30, v37
	v_cndmask_b32_e64 v29, v29, v30, s5
	v_cndmask_b32_e32 v5, 0x7fc00000, v29, vcc_lo
	v_mul_f32_e32 v70, v0, v5
	v_cndmask_b32_e64 v0, v122, v124, s23
	v_mul_f32_e32 v69, v65, v5
	v_cndmask_b32_e64 v5, v123, v125, s23
	v_mul_f32_e32 v29, v0, v0
	v_fmaak_f32 v30, s49, v29, 0x3c0881c4
	v_fmaak_f32 v30, v29, v30, 0xbe2aaa9d
	v_mul_f32_e32 v30, v29, v30
	v_fmac_f32_e32 v0, v0, v30
	v_fmaak_f32 v30, s50, v29, 0xbab64f3b
	v_fmaak_f32 v30, v29, v30, 0x3d2aabf7
	;; [unrolled: 1-line block ×3, first 2 shown]
	v_fma_f32 v29, v29, v30, 1.0
	v_and_b32_e32 v30, 1, v5
	v_lshlrev_b32_e32 v5, 30, v5
	v_cmp_eq_u32_e32 vcc_lo, 0, v30
	v_and_b32_e32 v5, 0x80000000, v5
	v_cndmask_b32_e64 v30, -v0, v29, vcc_lo
	v_cndmask_b32_e32 v0, v29, v0, vcc_lo
	v_xor_b32_e32 v30, v5, v30
	v_xor_b32_e32 v0, v116, v0
	v_cndmask_b32_e64 v30, 0x7fc00000, v30, s25
	v_xor3_b32 v0, v0, v117, v5
	v_cndmask_b32_e64 v5, v87, v89, s11
	v_mul_f32_e32 v71, v98, v30
	v_cndmask_b32_e64 v0, 0x7fc00000, v0, s25
	v_and_b32_e32 v5, 1, v5
	v_mul_f32_e32 v72, v98, v0
	v_cndmask_b32_e64 v0, v86, v88, s11
	v_cmp_eq_u32_e32 vcc_lo, 0, v5
	v_mul_f32_e32 v29, v0, v0
	v_fmaak_f32 v36, s51, v29, 0xbf039337
	v_fmaak_f32 v30, s34, v29, 0x3ec54587
	v_fmaak_f32 v36, v29, v36, 0x3f93f425
	v_rcp_f32_e32 v36, v36
	v_mul_f32_e32 v30, v30, v36
	v_mul_f32_e32 v29, v29, v30
	v_fma_f32 v30, v29, v0, v0
	v_sub_f32_e32 v36, v30, v0
	v_fma_f32 v0, v29, v0, -v36
	v_rcp_f32_e32 v29, v30
	v_fma_f32 v36, v30, -v29, 1.0
	v_fma_f32 v0, v0, -v29, v36
	v_fma_f32 v0, v0, -v29, -v29
	v_cndmask_b32_e32 v0, v0, v30, vcc_lo
	v_xor3_b32 v0, v75, v0, v76
	v_cndmask_b32_e64 v101, 0x7fc00000, v0, s14
	v_and_b32_e32 v102, 0x7fffffff, v101
	v_cmp_gt_f32_e64 s13, 0x48000000, |v101|
	v_cmp_class_f32_e64 s14, v101, 0x1f8
	v_lshrrev_b32_e32 v0, 23, v102
	v_and_or_b32 v83, v102, s47, 0x800000
	v_add_nc_u32_e32 v0, 0xffffff88, v0
	v_mad_u64_u32 v[29:30], null, 0xfe5163ab, v83, 0
	v_cmp_lt_u32_e32 vcc_lo, 63, v0
	v_cndmask_b32_e64 v5, 0, 0xffffffc0, vcc_lo
	v_add_nc_u32_e32 v0, v5, v0
	v_cmp_lt_u32_e64 s4, 31, v0
	v_cndmask_b32_e64 v5, 0, 0xffffffe0, s4
	v_add_nc_u32_e32 v0, v5, v0
	v_cmp_lt_u32_e64 s5, 31, v0
	v_cndmask_b32_e64 v5, 0, 0xffffffe0, s5
	v_add_nc_u32_e32 v0, v5, v0
	v_mov_b32_e32 v5, v30
	v_cmp_eq_u32_e64 s6, 0, v0
	v_mad_u64_u32 v[36:37], null, 0x3c439041, v83, v[5:6]
	v_sub_nc_u32_e32 v0, 32, v0
	v_mov_b32_e32 v5, v37
	v_mad_u64_u32 v[37:38], null, 0xdb629599, v83, v[5:6]
	v_mov_b32_e32 v5, v38
	v_cndmask_b32_e32 v29, v37, v29, vcc_lo
	v_mad_u64_u32 v[43:44], null, 0xf534ddc0, v83, v[5:6]
	v_mov_b32_e32 v5, v44
	v_cndmask_b32_e32 v36, v43, v36, vcc_lo
	v_mad_u64_u32 v[44:45], null, 0xfc2757d1, v83, v[5:6]
	v_cndmask_b32_e64 v29, v36, v29, s4
	v_mov_b32_e32 v5, v45
	v_mad_u64_u32 v[75:76], null, 0x4e441529, v83, v[5:6]
	v_mov_b32_e32 v5, v76
	v_cndmask_b32_e32 v30, v75, v43, vcc_lo
	v_mad_u64_u32 v[83:84], null, 0xa2f9836e, v83, v[5:6]
	v_cndmask_b32_e32 v5, v83, v44, vcc_lo
	v_cndmask_b32_e32 v45, v84, v75, vcc_lo
	;; [unrolled: 1-line block ×3, first 2 shown]
	v_cndmask_b32_e64 v38, v5, v30, s4
	v_cndmask_b32_e64 v5, v45, v5, s4
	;; [unrolled: 1-line block ×8, first 2 shown]
	v_alignbit_b32 v45, v5, v38, v0
	v_alignbit_b32 v44, v38, v30, v0
	;; [unrolled: 1-line block ×3, first 2 shown]
	v_cndmask_b32_e64 v5, v45, v5, s6
	v_cndmask_b32_e64 v38, v44, v38, s6
	v_cndmask_b32_e64 v0, v0, v30, s6
	v_bfe_u32 v75, v5, 29, 1
	v_alignbit_b32 v44, v5, v38, 30
	v_alignbit_b32 v30, v38, v0, 30
	;; [unrolled: 1-line block ×3, first 2 shown]
	v_lshrrev_b32_e32 v45, 29, v5
	v_sub_nc_u32_e32 v76, 0, v75
	v_xor_b32_e32 v44, v44, v76
	v_xor_b32_e32 v30, v30, v76
	;; [unrolled: 1-line block ×3, first 2 shown]
	v_ffbh_u32_e32 v36, v44
	v_min_u32_e32 v36, 32, v36
	v_sub_nc_u32_e32 v37, 31, v36
	v_alignbit_b32 v38, v44, v30, v37
	v_alignbit_b32 v0, v30, v0, v37
	;; [unrolled: 1-line block ×3, first 2 shown]
	v_ffbh_u32_e32 v30, v29
	v_min_u32_e32 v30, 32, v30
	v_not_b32_e32 v37, v30
	v_add_lshl_u32 v30, v30, v36, 23
	v_lshlrev_b32_e32 v36, 23, v36
	v_alignbit_b32 v0, v29, v0, v37
	v_lshlrev_b32_e32 v29, 31, v45
	v_lshrrev_b32_e32 v0, 9, v0
	v_or_b32_e32 v37, 0x33000000, v29
	v_or_b32_e32 v29, 0.5, v29
	v_sub_nc_u32_e32 v30, v37, v30
	v_sub_nc_u32_e32 v29, v29, v36
	v_or_b32_e32 v0, v30, v0
	v_lshrrev_b32_e32 v30, 9, v38
	v_or_b32_e32 v29, v30, v29
	v_mul_f32_e32 v30, 0x3fc90fda, v29
	v_fma_f32 v36, 0x3fc90fda, v29, -v30
	v_fmac_f32_e32 v36, 0x33a22168, v29
	v_fmac_f32_e32 v36, 0x3fc90fda, v0
	v_lshrrev_b32_e32 v0, 30, v5
	v_cndmask_b32_e64 v5, v78, v80, s8
	v_add_f32_e32 v116, v30, v36
	v_add_nc_u32_e32 v117, v75, v0
	v_mul_f32_e64 v0, 0x3f22f983, |v101|
	v_and_b32_e32 v5, 1, v5
	v_rndne_f32_e32 v0, v0
	v_cmp_eq_u32_e32 vcc_lo, 0, v5
	v_fma_f32 v122, 0xbfc90fda, v0, |v101|
	v_cvt_i32_f32_e32 v123, v0
	v_fmac_f32_e32 v122, 0xb3a22168, v0
	v_fmac_f32_e32 v122, 0xa7c234c4, v0
	v_cndmask_b32_e64 v0, v77, v79, s8
	v_mul_f32_e32 v29, v0, v0
	v_fmaak_f32 v36, s51, v29, 0xbf039337
	v_fmaak_f32 v30, s34, v29, 0x3ec54587
	;; [unrolled: 1-line block ×3, first 2 shown]
	v_rcp_f32_e32 v36, v36
	v_mul_f32_e32 v30, v30, v36
	v_mul_f32_e32 v29, v29, v30
	v_fma_f32 v30, v29, v0, v0
	v_sub_f32_e32 v36, v30, v0
	v_fma_f32 v0, v29, v0, -v36
	v_rcp_f32_e32 v29, v30
	v_fma_f32 v36, v30, -v29, 1.0
	v_fma_f32 v0, v0, -v29, v36
	v_fma_f32 v0, v0, -v29, -v29
	v_cndmask_b32_e32 v0, v0, v30, vcc_lo
	v_xor3_b32 v0, v73, v0, v74
	v_cndmask_b32_e64 v124, 0x7fc00000, v0, s10
	v_and_b32_e32 v125, 0x7fffffff, v124
	v_cmp_gt_f32_e64 s16, 0x48000000, |v124|
	v_cmp_class_f32_e64 s19, v124, 0x1f8
	v_lshrrev_b32_e32 v0, 23, v125
	v_and_or_b32 v75, v125, s47, 0x800000
	v_add_nc_u32_e32 v0, 0xffffff88, v0
	v_mad_u64_u32 v[29:30], null, 0xfe5163ab, v75, 0
	v_cmp_lt_u32_e32 vcc_lo, 63, v0
	v_cndmask_b32_e64 v5, 0, 0xffffffc0, vcc_lo
	v_add_nc_u32_e32 v0, v5, v0
	v_cmp_lt_u32_e64 s4, 31, v0
	v_cndmask_b32_e64 v5, 0, 0xffffffe0, s4
	v_add_nc_u32_e32 v0, v5, v0
	v_cmp_lt_u32_e64 s5, 31, v0
	v_cndmask_b32_e64 v5, 0, 0xffffffe0, s5
	v_add_nc_u32_e32 v0, v5, v0
	v_mov_b32_e32 v5, v30
	v_cmp_eq_u32_e64 s6, 0, v0
	v_mad_u64_u32 v[36:37], null, 0x3c439041, v75, v[5:6]
	v_sub_nc_u32_e32 v0, 32, v0
	v_mov_b32_e32 v5, v37
	v_mad_u64_u32 v[37:38], null, 0xdb629599, v75, v[5:6]
	v_mov_b32_e32 v5, v38
	v_cndmask_b32_e32 v29, v37, v29, vcc_lo
	v_mad_u64_u32 v[43:44], null, 0xf534ddc0, v75, v[5:6]
	v_mov_b32_e32 v5, v44
	v_cndmask_b32_e32 v36, v43, v36, vcc_lo
	v_mad_u64_u32 v[44:45], null, 0xfc2757d1, v75, v[5:6]
	v_cndmask_b32_e64 v29, v36, v29, s4
	v_mov_b32_e32 v5, v45
	v_mad_u64_u32 v[73:74], null, 0x4e441529, v75, v[5:6]
	v_mov_b32_e32 v5, v74
	v_cndmask_b32_e32 v30, v73, v43, vcc_lo
	v_mad_u64_u32 v[74:75], null, 0xa2f9836e, v75, v[5:6]
	v_cndmask_b32_e32 v5, v74, v44, vcc_lo
	v_cndmask_b32_e32 v45, v75, v73, vcc_lo
	;; [unrolled: 1-line block ×3, first 2 shown]
	v_cndmask_b32_e64 v38, v5, v30, s4
	v_cndmask_b32_e64 v5, v45, v5, s4
	;; [unrolled: 1-line block ×8, first 2 shown]
	v_alignbit_b32 v45, v5, v38, v0
	v_alignbit_b32 v44, v38, v30, v0
	;; [unrolled: 1-line block ×3, first 2 shown]
	v_cndmask_b32_e64 v5, v45, v5, s6
	v_cndmask_b32_e64 v38, v44, v38, s6
	v_cndmask_b32_e64 v0, v0, v30, s6
	v_bfe_u32 v73, v5, 29, 1
	v_alignbit_b32 v44, v5, v38, 30
	v_alignbit_b32 v30, v38, v0, 30
	;; [unrolled: 1-line block ×3, first 2 shown]
	v_lshrrev_b32_e32 v45, 29, v5
	v_sub_nc_u32_e32 v74, 0, v73
	v_xor_b32_e32 v44, v44, v74
	v_xor_b32_e32 v30, v30, v74
	v_xor_b32_e32 v0, v0, v74
	v_ffbh_u32_e32 v36, v44
	v_min_u32_e32 v36, 32, v36
	v_sub_nc_u32_e32 v37, 31, v36
	v_alignbit_b32 v38, v44, v30, v37
	v_alignbit_b32 v0, v30, v0, v37
	;; [unrolled: 1-line block ×3, first 2 shown]
	v_ffbh_u32_e32 v30, v29
	v_min_u32_e32 v30, 32, v30
	v_not_b32_e32 v37, v30
	v_add_lshl_u32 v30, v30, v36, 23
	v_lshlrev_b32_e32 v36, 23, v36
	v_alignbit_b32 v0, v29, v0, v37
	v_lshlrev_b32_e32 v29, 31, v45
	v_lshrrev_b32_e32 v0, 9, v0
	v_or_b32_e32 v37, 0x33000000, v29
	v_or_b32_e32 v29, 0.5, v29
	v_sub_nc_u32_e32 v30, v37, v30
	v_sub_nc_u32_e32 v29, v29, v36
	v_or_b32_e32 v0, v30, v0
	v_lshrrev_b32_e32 v30, 9, v38
	v_or_b32_e32 v29, v30, v29
	v_mul_f32_e32 v30, 0x3fc90fda, v29
	v_fma_f32 v36, 0x3fc90fda, v29, -v30
	v_fmac_f32_e32 v36, 0x33a22168, v29
	v_cndmask_b32_e64 v29, v91, v93, s12
	v_fmac_f32_e32 v36, 0x3fc90fda, v0
	v_lshrrev_b32_e32 v0, 30, v5
	v_add_f32_e32 v36, v30, v36
	v_add_nc_u32_e32 v37, v73, v0
	v_mul_f32_e64 v0, 0x3f22f983, |v124|
	v_rndne_f32_e32 v5, v0
	v_fma_f32 v0, 0xbfc90fda, v5, |v124|
	v_cvt_i32_f32_e32 v38, v5
	v_fmac_f32_e32 v0, 0xb3a22168, v5
	v_fmac_f32_e32 v0, 0xa7c234c4, v5
	v_cndmask_b32_e64 v5, v90, v92, s12
	v_add_f32_e32 v92, v52, v19
	v_cndmask_b32_e64 v0, v36, v0, s16
	v_mul_f32_e32 v30, v5, v5
	v_and_b32_e32 v93, 0x7fffffff, v92
	v_cmp_gt_f32_e64 s10, 0x48000000, |v92|
	v_fmaak_f32 v43, s49, v30, 0x3c0881c4
	v_fmaak_f32 v43, v30, v43, 0xbe2aaa9d
	v_mul_f32_e32 v43, v30, v43
	v_fmac_f32_e32 v5, v5, v43
	v_fmaak_f32 v43, s50, v30, 0xbab64f3b
	v_fmaak_f32 v43, v30, v43, 0x3d2aabf7
	;; [unrolled: 1-line block ×3, first 2 shown]
	v_fma_f32 v30, v30, v43, 1.0
	v_and_b32_e32 v43, 1, v29
	v_lshlrev_b32_e32 v29, 30, v29
	v_cmp_eq_u32_e32 vcc_lo, 0, v43
	v_and_b32_e32 v29, 0x80000000, v29
	v_cndmask_b32_e32 v5, v30, v5, vcc_lo
	v_xor_b32_e32 v29, v29, v81
	v_xor3_b32 v5, v29, v5, v82
	v_cndmask_b32_e64 v5, 0x7fc00000, v5, s15
	v_cmp_eq_f32_e32 vcc_lo, 1.0, v5
	v_frexp_mant_f32_e64 v29, |v5|
	v_cmp_gt_f32_e64 s5, 0, v5
	v_mul_f32_e32 v84, v42, v5
	v_cndmask_b32_e64 v43, 0x40400000, 1.0, vcc_lo
	v_cmp_gt_f32_e32 vcc_lo, 0x3f2aaaab, v29
	v_cndmask_b32_e64 v30, 1.0, 2.0, vcc_lo
	v_mul_f32_e32 v29, v29, v30
	v_add_f32_e32 v44, 1.0, v29
	v_add_f32_e32 v30, -1.0, v29
	v_add_f32_e32 v45, -1.0, v44
	v_sub_f32_e32 v29, v29, v45
	v_rcp_f32_e32 v45, v44
	v_mul_f32_e32 v73, v30, v45
	v_mul_f32_e32 v74, v44, v73
	v_fma_f32 v44, v73, v44, -v74
	v_fmac_f32_e32 v44, v73, v29
	v_add_f32_e32 v29, v74, v44
	v_sub_f32_e32 v75, v30, v29
	v_sub_f32_e32 v74, v29, v74
	;; [unrolled: 1-line block ×5, first 2 shown]
	v_add_f32_e32 v29, v30, v29
	v_add_f32_e32 v29, v75, v29
	v_mul_f32_e32 v29, v45, v29
	v_add_f32_e32 v44, v73, v29
	v_sub_f32_e32 v30, v44, v73
	v_sub_f32_e32 v45, v29, v30
	v_mul_f32_e32 v29, v44, v44
	v_add_f32_e32 v73, v45, v45
	v_fma_f32 v30, v44, v44, -v29
	v_fmac_f32_e32 v30, v44, v73
	v_add_f32_e32 v73, v29, v30
	v_sub_f32_e32 v29, v73, v29
	v_fmaak_f32 v74, s52, v73, 0x3e91f4c4
	v_sub_f32_e32 v29, v30, v29
	v_mul_f32_e32 v30, v44, v73
	v_fmaak_f32 v74, v73, v74, 0x3ecccdef
	v_fma_f32 v75, v73, v44, -v30
	v_fmac_f32_e32 v75, v73, v45
	v_fmac_f32_e32 v75, v29, v44
	v_ldexp_f32 v44, v44, 1
	v_add_f32_e32 v76, v30, v75
	v_sub_f32_e32 v30, v76, v30
	v_sub_f32_e32 v30, v75, v30
	v_mul_f32_e32 v75, v73, v74
	v_fma_f32 v73, v73, v74, -v75
	v_fmac_f32_e32 v73, v29, v74
	v_add_f32_e32 v29, v75, v73
	v_add_f32_e32 v74, 0x3f2aaaaa, v29
	v_sub_f32_e32 v75, v29, v75
	v_sub_f32_e32 v73, v73, v75
	v_add_f32_e32 v75, 0xbf2aaaaa, v74
	v_add_f32_e32 v73, 0x31739010, v73
	v_sub_f32_e32 v29, v29, v75
	v_add_f32_e32 v29, v73, v29
	v_add_f32_e32 v73, v74, v29
	v_sub_f32_e32 v74, v74, v73
	v_add_f32_e32 v29, v29, v74
	v_mul_f32_e32 v74, v76, v73
	v_fma_f32 v75, v76, v73, -v74
	v_fmac_f32_e32 v75, v76, v29
	v_fmac_f32_e32 v75, v30, v73
	v_cvt_f64_f32_e64 v[29:30], |v5|
	v_frexp_exp_i32_f64_e32 v29, v[29:30]
	v_subrev_co_ci_u32_e64 v29, null, 0, v29, vcc_lo
	v_cvt_f32_i32_e32 v29, v29
	v_mul_f32_e32 v30, 0x3f317218, v29
	v_fma_f32 v73, 0x3f317218, v29, -v30
	v_fmac_f32_e32 v73, 0xb102e308, v29
	v_ldexp_f32 v29, v45, 1
	v_add_f32_e32 v45, v30, v73
	v_sub_f32_e32 v30, v45, v30
	v_sub_f32_e32 v30, v73, v30
	v_add_f32_e32 v73, v74, v75
	v_sub_f32_e32 v74, v73, v74
	v_sub_f32_e32 v74, v75, v74
	v_add_f32_e32 v75, v44, v73
	v_add_f32_e32 v29, v29, v74
	v_sub_f32_e32 v44, v75, v44
	v_sub_f32_e32 v44, v73, v44
	v_add_f32_e32 v29, v29, v44
	;; [unrolled: 4-line block ×3, first 2 shown]
	v_sub_f32_e32 v74, v73, v45
	v_sub_f32_e32 v75, v73, v74
	;; [unrolled: 1-line block ×4, first 2 shown]
	v_add_f32_e32 v44, v44, v45
	v_add_f32_e32 v45, v30, v29
	v_sub_f32_e32 v74, v45, v30
	v_sub_f32_e32 v75, v45, v74
	;; [unrolled: 1-line block ×4, first 2 shown]
	v_add_f32_e32 v29, v29, v30
	v_add_f32_e32 v30, v45, v44
	;; [unrolled: 1-line block ×3, first 2 shown]
	v_sub_f32_e32 v45, v44, v73
	v_sub_f32_e32 v30, v30, v45
	v_add_f32_e32 v29, v29, v30
	v_add_f32_e32 v30, v44, v29
	v_sub_f32_e32 v44, v30, v44
	v_sub_f32_e32 v29, v29, v44
	v_mul_f32_e32 v44, v43, v30
	v_fma_f32 v30, v43, v30, -v44
	v_cmp_class_f32_e64 vcc_lo, v44, 0x204
	v_fmac_f32_e32 v30, v43, v29
	v_add_f32_e32 v29, v44, v30
	v_sub_f32_e32 v45, v29, v44
	v_cndmask_b32_e32 v29, v29, v44, vcc_lo
	v_sub_f32_e32 v30, v30, v45
	v_cmp_neq_f32_e64 vcc_lo, 0x7f800000, |v29|
	v_cndmask_b32_e32 v30, 0, v30, vcc_lo
	v_cmp_eq_f32_e32 vcc_lo, 0x42b17218, v29
	v_cndmask_b32_e64 v44, 0, 0x37000000, vcc_lo
	v_sub_f32_e32 v29, v29, v44
	v_add_f32_e32 v30, v44, v30
	v_mul_f32_e32 v44, 0x3fb8aa3b, v29
	v_cmp_ngt_f32_e32 vcc_lo, 0xc2ce8ed0, v29
	v_fma_f32 v45, 0x3fb8aa3b, v29, -v44
	v_rndne_f32_e32 v73, v44
	v_fmac_f32_e32 v45, 0x32a5705f, v29
	v_sub_f32_e32 v44, v44, v73
	v_add_f32_e32 v44, v44, v45
	v_cvt_i32_f32_e32 v45, v73
	v_exp_f32_e32 v44, v44
	v_ldexp_f32 v44, v44, v45
	v_cndmask_b32_e32 v44, 0, v44, vcc_lo
	v_cmp_nlt_f32_e32 vcc_lo, 0x42b17218, v29
	v_cndmask_b32_e32 v29, 0x7f800000, v44, vcc_lo
	v_fma_f32 v30, v29, v30, v29
	v_cmp_class_f32_e64 vcc_lo, v29, 0x204
	v_cndmask_b32_e32 v29, v30, v29, vcc_lo
	v_trunc_f32_e32 v30, v43
	v_cmp_eq_f32_e32 vcc_lo, v30, v43
	v_mul_f32_e32 v30, 0.5, v43
	v_trunc_f32_e32 v43, v30
	v_cmp_neq_f32_e64 s4, v43, v30
	s_and_b32 s4, vcc_lo, s4
	v_cndmask_b32_e64 v30, 1.0, v5, s4
	v_cndmask_b32_e64 v43, 0, v5, s4
	v_bfi_b32 v29, 0x7fffffff, v29, v30
	v_cndmask_b32_e32 v30, 0x7fc00000, v29, vcc_lo
	v_cmp_eq_f32_e32 vcc_lo, 0, v5
	v_cndmask_b32_e64 v29, v29, v30, s5
	v_cndmask_b32_e64 v30, 0x7f800000, 0, vcc_lo
	v_cmp_class_f32_e64 s5, v5, 0x204
	v_bfi_b32 v30, 0x7fffffff, v30, v43
	s_or_b32 s5, vcc_lo, s5
	v_cmp_o_f32_e32 vcc_lo, v5, v5
	v_cndmask_b32_e64 v29, v29, v30, s5
	v_mul_f32_e32 v30, v85, v85
	v_cndmask_b32_e32 v43, 0x7fc00000, v29, vcc_lo
	v_fmaak_f32 v44, s49, v30, 0x3c0881c4
	v_cndmask_b32_e64 v29, v104, v106, s17
	v_fmaak_f32 v44, v30, v44, 0xbe2aaa9d
	v_mul_f32_e32 v44, v30, v44
	v_fmac_f32_e32 v85, v85, v44
	v_fmaak_f32 v44, s50, v30, 0xbab64f3b
	v_fmaak_f32 v44, v30, v44, 0x3d2aabf7
	;; [unrolled: 1-line block ×3, first 2 shown]
	v_fma_f32 v44, v30, v44, 1.0
	v_and_b32_e32 v30, 1, v29
	v_lshlrev_b32_e32 v29, 30, v29
	v_cmp_eq_u32_e64 s4, 0, v30
	v_and_b32_e32 v45, 0x80000000, v29
	v_cndmask_b32_e64 v30, v44, v85, s4
	v_cndmask_b32_e64 v5, -v85, v44, s4
	v_xor_b32_e32 v29, v96, v30
	v_xor_b32_e32 v5, v45, v5
	v_xor3_b32 v29, v29, v97, v45
	v_cndmask_b32_e64 v5, 0x7fc00000, v5, s18
	v_cndmask_b32_e64 v73, 0x7fc00000, v29, s18
	v_mul_f32_e32 v85, v42, v5
	v_cndmask_b32_e64 v5, v12, v33, s28
	v_cmp_eq_f32_e32 vcc_lo, 1.0, v73
	v_frexp_mant_f32_e64 v29, |v73|
	v_cmp_gt_f32_e64 s6, 0, v73
	v_mul_f32_e32 v12, v5, v5
	v_cndmask_b32_e64 v74, 0x40400000, 1.0, vcc_lo
	v_cmp_gt_f32_e32 vcc_lo, 0x3f2aaaab, v29
	v_cndmask_b32_e64 v30, 1.0, 2.0, vcc_lo
	v_mul_f32_e32 v29, v29, v30
	v_add_f32_e32 v75, 1.0, v29
	v_add_f32_e32 v30, -1.0, v29
	v_add_f32_e32 v76, -1.0, v75
	v_sub_f32_e32 v29, v29, v76
	v_rcp_f32_e32 v76, v75
	v_mul_f32_e32 v77, v30, v76
	v_mul_f32_e32 v78, v75, v77
	v_fma_f32 v75, v77, v75, -v78
	v_fmac_f32_e32 v75, v77, v29
	v_add_f32_e32 v29, v78, v75
	v_sub_f32_e32 v79, v30, v29
	v_sub_f32_e32 v78, v29, v78
	;; [unrolled: 1-line block ×5, first 2 shown]
	v_add_f32_e32 v29, v30, v29
	v_add_f32_e32 v29, v79, v29
	v_mul_f32_e32 v29, v76, v29
	v_add_f32_e32 v75, v77, v29
	v_sub_f32_e32 v30, v75, v77
	v_sub_f32_e32 v76, v29, v30
	v_mul_f32_e32 v29, v75, v75
	v_add_f32_e32 v77, v76, v76
	v_fma_f32 v30, v75, v75, -v29
	v_fmac_f32_e32 v30, v75, v77
	v_add_f32_e32 v77, v29, v30
	v_sub_f32_e32 v29, v77, v29
	v_fmaak_f32 v78, s52, v77, 0x3e91f4c4
	v_sub_f32_e32 v29, v30, v29
	v_mul_f32_e32 v30, v75, v77
	v_fmaak_f32 v78, v77, v78, 0x3ecccdef
	v_fma_f32 v79, v77, v75, -v30
	v_fmac_f32_e32 v79, v77, v76
	v_fmac_f32_e32 v79, v29, v75
	v_ldexp_f32 v75, v75, 1
	v_add_f32_e32 v80, v30, v79
	v_sub_f32_e32 v30, v80, v30
	v_sub_f32_e32 v30, v79, v30
	v_mul_f32_e32 v79, v77, v78
	v_fma_f32 v77, v77, v78, -v79
	v_fmac_f32_e32 v77, v29, v78
	v_add_f32_e32 v29, v79, v77
	v_add_f32_e32 v78, 0x3f2aaaaa, v29
	v_sub_f32_e32 v79, v29, v79
	v_sub_f32_e32 v77, v77, v79
	v_add_f32_e32 v79, 0xbf2aaaaa, v78
	v_add_f32_e32 v77, 0x31739010, v77
	v_sub_f32_e32 v29, v29, v79
	v_add_f32_e32 v29, v77, v29
	v_add_f32_e32 v77, v78, v29
	v_sub_f32_e32 v78, v78, v77
	v_add_f32_e32 v29, v29, v78
	v_mul_f32_e32 v78, v80, v77
	v_fma_f32 v79, v80, v77, -v78
	v_fmac_f32_e32 v79, v80, v29
	v_fmac_f32_e32 v79, v30, v77
	v_cvt_f64_f32_e64 v[29:30], |v73|
	v_frexp_exp_i32_f64_e32 v29, v[29:30]
	v_subrev_co_ci_u32_e64 v29, null, 0, v29, vcc_lo
	v_cvt_f32_i32_e32 v29, v29
	v_mul_f32_e32 v30, 0x3f317218, v29
	v_fma_f32 v77, 0x3f317218, v29, -v30
	v_fmac_f32_e32 v77, 0xb102e308, v29
	v_ldexp_f32 v29, v76, 1
	v_add_f32_e32 v76, v30, v77
	v_sub_f32_e32 v30, v76, v30
	v_sub_f32_e32 v30, v77, v30
	v_add_f32_e32 v77, v78, v79
	v_sub_f32_e32 v78, v77, v78
	v_sub_f32_e32 v78, v79, v78
	v_add_f32_e32 v79, v75, v77
	v_add_f32_e32 v29, v29, v78
	v_sub_f32_e32 v75, v79, v75
	v_sub_f32_e32 v75, v77, v75
	v_add_f32_e32 v29, v29, v75
	;; [unrolled: 4-line block ×3, first 2 shown]
	v_sub_f32_e32 v78, v77, v76
	v_sub_f32_e32 v79, v77, v78
	v_sub_f32_e32 v75, v75, v78
	v_sub_f32_e32 v76, v76, v79
	v_add_f32_e32 v75, v75, v76
	v_add_f32_e32 v76, v30, v29
	v_sub_f32_e32 v78, v76, v30
	v_sub_f32_e32 v79, v76, v78
	;; [unrolled: 1-line block ×4, first 2 shown]
	v_add_f32_e32 v29, v29, v30
	v_add_f32_e32 v30, v76, v75
	;; [unrolled: 1-line block ×3, first 2 shown]
	v_sub_f32_e32 v76, v75, v77
	v_sub_f32_e32 v30, v30, v76
	v_add_f32_e32 v29, v29, v30
	v_add_f32_e32 v30, v75, v29
	v_sub_f32_e32 v75, v30, v75
	v_sub_f32_e32 v29, v29, v75
	v_mul_f32_e32 v75, v74, v30
	v_fma_f32 v30, v74, v30, -v75
	v_cmp_class_f32_e64 vcc_lo, v75, 0x204
	v_fmac_f32_e32 v30, v74, v29
	v_add_f32_e32 v29, v75, v30
	v_sub_f32_e32 v76, v29, v75
	v_cndmask_b32_e32 v29, v29, v75, vcc_lo
	v_sub_f32_e32 v30, v30, v76
	v_cmp_neq_f32_e64 vcc_lo, 0x7f800000, |v29|
	v_cndmask_b32_e32 v30, 0, v30, vcc_lo
	v_cmp_eq_f32_e32 vcc_lo, 0x42b17218, v29
	v_cndmask_b32_e64 v75, 0, 0x37000000, vcc_lo
	v_sub_f32_e32 v29, v29, v75
	v_add_f32_e32 v30, v75, v30
	v_mul_f32_e32 v75, 0x3fb8aa3b, v29
	v_cmp_ngt_f32_e32 vcc_lo, 0xc2ce8ed0, v29
	v_fma_f32 v76, 0x3fb8aa3b, v29, -v75
	v_rndne_f32_e32 v77, v75
	v_fmac_f32_e32 v76, 0x32a5705f, v29
	v_sub_f32_e32 v75, v75, v77
	v_add_f32_e32 v75, v75, v76
	v_cvt_i32_f32_e32 v76, v77
	v_exp_f32_e32 v75, v75
	v_ldexp_f32 v75, v75, v76
	v_cndmask_b32_e32 v75, 0, v75, vcc_lo
	v_cmp_nlt_f32_e32 vcc_lo, 0x42b17218, v29
	v_cndmask_b32_e32 v29, 0x7f800000, v75, vcc_lo
	v_fma_f32 v30, v29, v30, v29
	v_cmp_class_f32_e64 vcc_lo, v29, 0x204
	v_cndmask_b32_e32 v29, v30, v29, vcc_lo
	v_trunc_f32_e32 v30, v74
	v_cmp_eq_f32_e32 vcc_lo, v30, v74
	v_mul_f32_e32 v30, 0.5, v74
	v_trunc_f32_e32 v74, v30
	v_cmp_neq_f32_e64 s5, v74, v30
	s_and_b32 s5, vcc_lo, s5
	v_cndmask_b32_e64 v30, 1.0, v73, s5
	v_cndmask_b32_e64 v74, 0, v73, s5
	v_bfi_b32 v29, 0x7fffffff, v29, v30
	v_cndmask_b32_e32 v30, 0x7fc00000, v29, vcc_lo
	v_cmp_eq_f32_e32 vcc_lo, 0, v73
	v_cndmask_b32_e64 v29, v29, v30, s6
	v_cndmask_b32_e64 v30, 0x7f800000, 0, vcc_lo
	v_cmp_class_f32_e64 s6, v73, 0x204
	v_bfi_b32 v30, 0x7fffffff, v30, v74
	s_or_b32 s6, vcc_lo, s6
	v_cmp_o_f32_e32 vcc_lo, v73, v73
	v_cndmask_b32_e64 v29, v29, v30, s6
	v_cndmask_b32_e32 v29, 0x7fc00000, v29, vcc_lo
	v_add_f32_e32 v30, v43, v29
	v_sub_f32_e32 v29, v43, v29
	v_mul_f32_e32 v73, v42, v30
	v_mul_f32_e32 v74, v42, v29
	v_cndmask_b32_e64 v29, v110, v112, s20
	v_cndmask_b32_e64 v30, v111, v113, s20
	v_mul_f32_e32 v43, v29, v29
	v_fmaak_f32 v75, s49, v43, 0x3c0881c4
	v_fmaak_f32 v75, v43, v75, 0xbe2aaa9d
	v_mul_f32_e32 v75, v43, v75
	v_fmac_f32_e32 v29, v29, v75
	v_fmaak_f32 v75, s50, v43, 0xbab64f3b
	v_fmaak_f32 v75, v43, v75, 0x3d2aabf7
	;; [unrolled: 1-line block ×3, first 2 shown]
	v_fma_f32 v43, v43, v75, 1.0
	v_and_b32_e32 v75, 1, v30
	v_lshlrev_b32_e32 v30, 30, v30
	v_cmp_eq_u32_e32 vcc_lo, 0, v75
	v_and_b32_e32 v30, 0x80000000, v30
	v_cndmask_b32_e64 v75, -v29, v43, vcc_lo
	v_cndmask_b32_e32 v29, v43, v29, vcc_lo
	v_xor_b32_e32 v75, v30, v75
	v_xor_b32_e32 v29, v42, v29
	v_cndmask_b32_e64 v79, 0x7fc00000, v75, s21
	v_xor3_b32 v29, v29, v107, v30
	v_div_scale_f32 v30, null, v42, v42, v66
	v_mul_f32_e32 v75, v79, v66
	v_cndmask_b32_e64 v29, 0x7fc00000, v29, s21
	v_rcp_f32_e32 v43, v30
	v_mul_f32_e32 v76, v29, v65
	v_add_f32_e32 v29, v29, v65
	v_fma_f32 v77, -v30, v43, 1.0
	v_fmac_f32_e32 v43, v77, v43
	v_div_scale_f32 v77, vcc_lo, v66, v42, v66
	v_mul_f32_e32 v78, v77, v43
	v_fma_f32 v80, -v30, v78, v77
	v_fmac_f32_e32 v78, v80, v43
	v_fma_f32 v30, -v30, v78, v77
	v_div_fmas_f32 v30, v30, v43, v78
	v_mul_f32_e32 v78, v42, v29
	v_sub_f32_e32 v29, v66, v79
	v_div_fixup_f32 v77, v30, v42, v66
	v_cndmask_b32_e64 v30, v119, v121, s22
	v_mul_f32_e32 v79, v42, v29
	v_cndmask_b32_e64 v29, v118, v120, s22
	v_mul_f32_e32 v43, v29, v29
	v_fmaak_f32 v80, s49, v43, 0x3c0881c4
	v_fmaak_f32 v80, v43, v80, 0xbe2aaa9d
	v_mul_f32_e32 v80, v43, v80
	v_fmac_f32_e32 v29, v29, v80
	v_fmaak_f32 v80, s50, v43, 0xbab64f3b
	v_fmaak_f32 v80, v43, v80, 0x3d2aabf7
	;; [unrolled: 1-line block ×3, first 2 shown]
	v_fma_f32 v43, v43, v80, 1.0
	v_and_b32_e32 v80, 1, v30
	v_lshlrev_b32_e32 v30, 30, v30
	v_cmp_eq_u32_e32 vcc_lo, 0, v80
	v_and_b32_e32 v30, 0x80000000, v30
	v_cndmask_b32_e32 v80, v43, v29, vcc_lo
	v_cndmask_b32_e64 v29, -v29, v43, vcc_lo
	v_xor_b32_e32 v80, v114, v80
	v_xor_b32_e32 v29, v30, v29
	v_xor3_b32 v80, v80, v115, v30
	v_cndmask_b32_e64 v29, 0x7fc00000, v29, s24
	v_cndmask_b32_e64 v80, 0x7fc00000, v80, s24
	v_mul_f32_e32 v81, v55, v29
	v_fmaak_f32 v29, s49, v27, 0x3c0881c4
	v_mul_f32_e32 v80, v55, v80
	v_fmaak_f32 v29, v27, v29, 0xbe2aaa9d
	v_mul_f32_e32 v29, v27, v29
	v_fmac_f32_e32 v23, v23, v29
	v_fmaak_f32 v29, s50, v27, 0xbab64f3b
	v_fmaak_f32 v29, v27, v29, 0x3d2aabf7
	;; [unrolled: 1-line block ×3, first 2 shown]
	v_fma_f32 v27, v27, v29, 1.0
	v_and_b32_e32 v29, 1, v26
	v_lshlrev_b32_e32 v26, 30, v26
	v_cmp_eq_u32_e32 vcc_lo, 0, v29
	v_and_b32_e32 v26, 0x80000000, v26
	v_cndmask_b32_e32 v29, v27, v23, vcc_lo
	v_cndmask_b32_e64 v23, -v23, v27, vcc_lo
	v_xor_b32_e32 v29, v126, v29
	v_xor_b32_e32 v23, v26, v23
	v_xor3_b32 v29, v29, v127, v26
	v_cndmask_b32_e64 v23, 0x7fc00000, v23, s27
	v_cndmask_b32_e64 v29, 0x7fc00000, v29, s27
	v_mul_f32_e64 v83, v23, -v42
	v_fmaak_f32 v23, s49, v12, 0x3c0881c4
	v_mul_f32_e32 v82, v42, v29
	v_fmaak_f32 v23, v12, v23, 0xbe2aaa9d
	v_mul_f32_e32 v23, v12, v23
	v_fmac_f32_e32 v5, v5, v23
	v_fmaak_f32 v23, s50, v12, 0xbab64f3b
	v_fmaak_f32 v23, v12, v23, 0x3d2aabf7
	;; [unrolled: 1-line block ×3, first 2 shown]
	v_fma_f32 v12, v12, v23, 1.0
	v_and_b32_e32 v23, 1, v3
	v_lshlrev_b32_e32 v3, 30, v3
	v_cmp_eq_u32_e32 vcc_lo, 0, v23
	v_and_b32_e32 v3, 0x80000000, v3
	v_cndmask_b32_e32 v23, v12, v5, vcc_lo
	v_or_b32_e32 v11, v3, v11
	v_cndmask_b32_e64 v5, -v5, v12, vcc_lo
	v_xor3_b32 v11, v11, v20, v23
	v_xor_b32_e32 v3, v3, v5
	v_and_or_b32 v20, v93, s47, 0x800000
	v_cndmask_b32_e64 v11, 0x7fc00000, v11, s29
	v_cndmask_b32_e64 v3, 0x7fc00000, v3, s29
	v_mul_f32_e32 v87, v21, v11
	v_mul_f32_e32 v5, v21, v3
	v_fmac_f32_e32 v87, v22, v3
	v_add_f32_e32 v3, v8, v19
	v_fma_f32 v86, v22, v11, -v5
	v_cvt_f64_f32_e64 v[11:12], |v3|
	v_cmp_eq_f32_e64 vcc_lo, |v3|, |v24|
	v_bfi_b32 v5, 0x7fffffff, 0, v3
	v_cmp_gt_f32_e64 s18, |v3|, |v24|
	v_and_b32_e32 v91, 0x80000000, v3
	v_cmp_class_f32_e64 s5, v3, 0x1f8
	v_cndmask_b32_e32 v88, v3, v5, vcc_lo
	s_and_b32 s5, s1, s5
	v_frexp_exp_i32_f64_e32 v5, v[11:12]
	v_frexp_mant_f32_e64 v11, |v3|
	v_lshrrev_b32_e32 v3, 23, v93
	v_ldexp_f32 v89, v11, 12
	buffer_load_dword v11, off, s[56:59], 0 offset:4 ; 4-byte Folded Reload
	v_add_nc_u32_e32 v3, 0xffffff88, v3
	v_cmp_lt_u32_e32 vcc_lo, 63, v3
	s_waitcnt vmcnt(0)
	v_sub_nc_u32_e32 v90, v5, v11
	v_cndmask_b32_e64 v5, 0, 0xffffffc0, vcc_lo
	v_mad_u64_u32 v[11:12], null, 0xfe5163ab, v20, 0
	v_cmp_lt_i32_e64 s4, 12, v90
	v_add_nc_u32_e32 v3, v5, v3
	v_cmp_lt_u32_e64 s6, 31, v3
	v_cndmask_b32_e64 v5, 0, 0xffffffe0, s6
	v_add_nc_u32_e32 v3, v5, v3
	v_cmp_lt_u32_e64 s7, 31, v3
	v_cndmask_b32_e64 v5, 0, 0xffffffe0, s7
	v_add_nc_u32_e32 v3, v5, v3
	v_mov_b32_e32 v5, v12
	v_cmp_eq_u32_e64 s8, 0, v3
	v_mad_u64_u32 v[26:27], null, 0x3c439041, v20, v[5:6]
	v_sub_nc_u32_e32 v3, 32, v3
	v_mov_b32_e32 v5, v27
	v_mad_u64_u32 v[29:30], null, 0xdb629599, v20, v[5:6]
	v_mov_b32_e32 v5, v30
	v_cndmask_b32_e32 v11, v29, v11, vcc_lo
	v_mad_u64_u32 v[32:33], null, 0xf534ddc0, v20, v[5:6]
	v_mov_b32_e32 v5, v33
	v_cndmask_b32_e32 v26, v32, v26, vcc_lo
	v_mad_u64_u32 v[43:44], null, 0xfc2757d1, v20, v[5:6]
	v_cndmask_b32_e64 v11, v26, v11, s6
	v_mov_b32_e32 v5, v44
	v_mad_u64_u32 v[44:45], null, 0x4e441529, v20, v[5:6]
	v_mov_b32_e32 v5, v45
	v_cndmask_b32_e32 v12, v44, v32, vcc_lo
	v_mad_u64_u32 v[94:95], null, 0xa2f9836e, v20, v[5:6]
	v_cndmask_b32_e32 v5, v94, v43, vcc_lo
	v_cndmask_b32_e32 v23, v95, v44, vcc_lo
	v_sub_f32_e32 v94, v19, v52
	v_cndmask_b32_e64 v20, v5, v12, s6
	v_cndmask_b32_e64 v5, v23, v5, s6
	v_cndmask_b32_e32 v23, v43, v29, vcc_lo
	v_and_b32_e32 v95, 0x7fffffff, v94
	v_cmp_gt_f32_e64 s11, 0x48000000, |v94|
	v_cndmask_b32_e64 v5, v5, v20, s7
	v_cndmask_b32_e64 v12, v12, v23, s6
	;; [unrolled: 1-line block ×3, first 2 shown]
	v_and_or_b32 v19, v95, s47, 0x800000
	v_cmp_class_f32_e64 s6, v92, 0x1f8
	v_cndmask_b32_e64 v20, v20, v12, s7
	v_cndmask_b32_e64 v12, v12, v23, s7
	v_cndmask_b32_e64 v11, v23, v11, s7
	v_alignbit_b32 v27, v5, v20, v3
	v_cndmask_b32_e64 v5, v27, v5, s8
	v_alignbit_b32 v27, v20, v12, v3
	v_alignbit_b32 v3, v12, v11, v3
	v_bfe_u32 v32, v5, 29, 1
	v_cndmask_b32_e64 v20, v27, v20, s8
	v_cndmask_b32_e64 v3, v3, v12, s8
	v_lshrrev_b32_e32 v30, 29, v5
	v_sub_nc_u32_e32 v33, 0, v32
	v_alignbit_b32 v27, v5, v20, 30
	v_alignbit_b32 v12, v20, v3, 30
	;; [unrolled: 1-line block ×3, first 2 shown]
	v_xor_b32_e32 v27, v27, v33
	v_xor_b32_e32 v12, v12, v33
	;; [unrolled: 1-line block ×3, first 2 shown]
	v_ffbh_u32_e32 v20, v27
	v_min_u32_e32 v20, 32, v20
	v_sub_nc_u32_e32 v23, 31, v20
	v_alignbit_b32 v26, v27, v12, v23
	v_alignbit_b32 v3, v12, v3, v23
	;; [unrolled: 1-line block ×3, first 2 shown]
	v_ffbh_u32_e32 v12, v11
	v_min_u32_e32 v12, 32, v12
	v_not_b32_e32 v23, v12
	v_add_lshl_u32 v12, v12, v20, 23
	v_lshlrev_b32_e32 v20, 23, v20
	v_alignbit_b32 v3, v11, v3, v23
	v_lshlrev_b32_e32 v11, 31, v30
	v_lshrrev_b32_e32 v3, 9, v3
	v_or_b32_e32 v23, 0x33000000, v11
	v_or_b32_e32 v11, 0.5, v11
	v_sub_nc_u32_e32 v12, v23, v12
	v_sub_nc_u32_e32 v11, v11, v20
	v_or_b32_e32 v3, v12, v3
	v_lshrrev_b32_e32 v12, 9, v26
	v_or_b32_e32 v11, v12, v11
	v_mul_f32_e32 v12, 0x3fc90fda, v11
	v_fma_f32 v20, 0x3fc90fda, v11, -v12
	v_fmac_f32_e32 v20, 0x33a22168, v11
	v_fmac_f32_e32 v20, 0x3fc90fda, v3
	v_lshrrev_b32_e32 v3, 30, v5
	v_add_f32_e32 v20, v12, v20
	v_add_nc_u32_e32 v104, v32, v3
	v_mul_f32_e64 v3, 0x3f22f983, |v92|
	v_mad_u64_u32 v[11:12], null, 0xfe5163ab, v19, 0
	v_rndne_f32_e32 v3, v3
	v_fma_f32 v103, 0xbfc90fda, v3, |v92|
	v_cvt_i32_f32_e32 v105, v3
	v_fmac_f32_e32 v103, 0xb3a22168, v3
	v_fmac_f32_e32 v103, 0xa7c234c4, v3
	v_lshrrev_b32_e32 v3, 23, v95
	v_cndmask_b32_e64 v103, v20, v103, s10
	v_add_nc_u32_e32 v3, 0xffffff88, v3
	v_mul_f32_e32 v20, v103, v103
	v_cmp_lt_u32_e32 vcc_lo, 63, v3
	v_cndmask_b32_e64 v5, 0, 0xffffffc0, vcc_lo
	v_add_nc_u32_e32 v3, v5, v3
	v_cmp_lt_u32_e64 s7, 31, v3
	v_cndmask_b32_e64 v5, 0, 0xffffffe0, s7
	v_add_nc_u32_e32 v3, v5, v3
	v_cmp_lt_u32_e64 s8, 31, v3
	v_cndmask_b32_e64 v5, 0, 0xffffffe0, s8
	v_add_nc_u32_e32 v3, v5, v3
	v_mov_b32_e32 v5, v12
	v_cmp_eq_u32_e64 s9, 0, v3
	v_mad_u64_u32 v[26:27], null, 0x3c439041, v19, v[5:6]
	v_sub_nc_u32_e32 v3, 32, v3
	v_mov_b32_e32 v5, v27
	v_mad_u64_u32 v[29:30], null, 0xdb629599, v19, v[5:6]
	v_mov_b32_e32 v5, v30
	v_cndmask_b32_e32 v11, v29, v11, vcc_lo
	v_mad_u64_u32 v[32:33], null, 0xf534ddc0, v19, v[5:6]
	v_mov_b32_e32 v5, v33
	v_cndmask_b32_e32 v26, v32, v26, vcc_lo
	v_mad_u64_u32 v[43:44], null, 0xfc2757d1, v19, v[5:6]
	v_cndmask_b32_e64 v11, v26, v11, s7
	v_mov_b32_e32 v5, v44
	v_mad_u64_u32 v[44:45], null, 0x4e441529, v19, v[5:6]
	v_mov_b32_e32 v5, v45
	v_cndmask_b32_e32 v12, v44, v32, vcc_lo
	v_mad_u64_u32 v[96:97], null, 0xa2f9836e, v19, v[5:6]
	v_cndmask_b32_e32 v5, v96, v43, vcc_lo
	v_cndmask_b32_e32 v23, v97, v44, vcc_lo
	v_cndmask_b32_e64 v19, v5, v12, s7
	v_cndmask_b32_e64 v5, v23, v5, s7
	v_cndmask_b32_e32 v23, v43, v29, vcc_lo
	v_cndmask_b32_e64 v5, v5, v19, s8
	v_cndmask_b32_e64 v12, v12, v23, s7
	;; [unrolled: 1-line block ×3, first 2 shown]
	v_cmp_class_f32_e64 s7, v94, 0x1f8
	v_cndmask_b32_e64 v19, v19, v12, s8
	v_cndmask_b32_e64 v12, v12, v23, s8
	v_cndmask_b32_e64 v11, v23, v11, s8
	v_alignbit_b32 v27, v5, v19, v3
	v_cndmask_b32_e64 v5, v27, v5, s9
	v_alignbit_b32 v27, v19, v12, v3
	v_alignbit_b32 v3, v12, v11, v3
	v_bfe_u32 v32, v5, 29, 1
	v_cndmask_b32_e64 v19, v27, v19, s9
	v_cndmask_b32_e64 v3, v3, v12, s9
	v_lshrrev_b32_e32 v30, 29, v5
	v_sub_nc_u32_e32 v33, 0, v32
	v_alignbit_b32 v27, v5, v19, 30
	v_alignbit_b32 v12, v19, v3, 30
	;; [unrolled: 1-line block ×3, first 2 shown]
	v_xor_b32_e32 v27, v27, v33
	v_xor_b32_e32 v12, v12, v33
	v_xor_b32_e32 v3, v3, v33
	v_ffbh_u32_e32 v19, v27
	v_min_u32_e32 v19, 32, v19
	v_sub_nc_u32_e32 v23, 31, v19
	v_alignbit_b32 v26, v27, v12, v23
	v_alignbit_b32 v3, v12, v3, v23
	;; [unrolled: 1-line block ×3, first 2 shown]
	v_ffbh_u32_e32 v12, v11
	v_min_u32_e32 v12, 32, v12
	v_not_b32_e32 v23, v12
	v_add_lshl_u32 v12, v12, v19, 23
	v_lshlrev_b32_e32 v19, 23, v19
	v_alignbit_b32 v3, v11, v3, v23
	v_lshlrev_b32_e32 v11, 31, v30
	v_lshrrev_b32_e32 v3, 9, v3
	v_or_b32_e32 v23, 0x33000000, v11
	v_or_b32_e32 v11, 0.5, v11
	v_sub_nc_u32_e32 v12, v23, v12
	v_sub_nc_u32_e32 v11, v11, v19
	v_or_b32_e32 v3, v12, v3
	v_lshrrev_b32_e32 v12, 9, v26
	v_or_b32_e32 v11, v12, v11
	v_mul_f32_e32 v12, 0x3fc90fda, v11
	v_fma_f32 v19, 0x3fc90fda, v11, -v12
	v_fmac_f32_e32 v19, 0x33a22168, v11
	v_fmac_f32_e32 v19, 0x3fc90fda, v3
	v_lshrrev_b32_e32 v3, 30, v5
	v_add_f32_e32 v19, v12, v19
	v_add_nc_u32_e32 v109, v32, v3
	v_mul_f32_e64 v3, 0x3f22f983, |v94|
	v_rndne_f32_e32 v3, v3
	v_fma_f32 v108, 0xbfc90fda, v3, |v94|
	v_cvt_i32_f32_e32 v110, v3
	v_fmac_f32_e32 v108, 0xb3a22168, v3
	v_fmac_f32_e32 v108, 0xa7c234c4, v3
	v_add_f32_e32 v3, v28, v42
	v_cndmask_b32_e64 v108, v19, v108, s11
	v_cvt_f64_f32_e64 v[11:12], |v3|
	v_cmp_eq_f32_e64 vcc_lo, |v3|, |v25|
	v_bfi_b32 v5, 0x7fffffff, 0, v3
	v_cmp_gt_f32_e64 s20, |v3|, |v25|
	v_and_b32_e32 v99, 0x80000000, v3
	v_cmp_class_f32_e64 s9, v3, 0x1f8
	v_mul_f32_e32 v19, v108, v108
	v_cndmask_b32_e32 v96, v3, v5, vcc_lo
	s_and_b32 s9, s3, s9
	v_frexp_exp_i32_f64_e32 v5, v[11:12]
	v_frexp_mant_f32_e64 v11, |v3|
	v_fma_f32 v3, -v2, v2, 1.0
	v_ldexp_f32 v97, v11, 12
	buffer_load_dword v11, off, s[56:59], 0 ; 4-byte Folded Reload
	v_mul_f32_e32 v100, v3, v42
	v_cndmask_b32_e64 v3, v116, v122, s13
	s_waitcnt vmcnt(0)
	v_sub_nc_u32_e32 v98, v5, v11
	v_mul_f32_e32 v11, v3, v3
	v_cndmask_b32_e64 v5, v117, v123, s13
	v_cmp_lt_i32_e64 s8, 12, v98
	v_fmaak_f32 v12, s49, v11, 0x3c0881c4
	v_fmaak_f32 v12, v11, v12, 0xbe2aaa9d
	v_mul_f32_e32 v12, v11, v12
	v_fmac_f32_e32 v3, v3, v12
	v_fmaak_f32 v12, s50, v11, 0xbab64f3b
	v_fmaak_f32 v12, v11, v12, 0x3d2aabf7
	;; [unrolled: 1-line block ×3, first 2 shown]
	v_fma_f32 v11, v11, v12, 1.0
	v_and_b32_e32 v12, 1, v5
	v_lshlrev_b32_e32 v5, 30, v5
	v_cmp_eq_u32_e32 vcc_lo, 0, v12
	v_and_b32_e32 v5, 0x80000000, v5
	v_cndmask_b32_e32 v3, v11, v3, vcc_lo
	v_xor_b32_e32 v5, v5, v101
	v_xor3_b32 v3, v5, v3, v102
	v_mul_f32_e32 v5, v0, v0
	v_cndmask_b32_e64 v3, 0x7fc00000, v3, s14
	v_fmaak_f32 v11, s49, v5, 0x3c0881c4
	v_fma_f32 v101, v2, v3, v22
	v_fmaak_f32 v11, v5, v11, 0xbe2aaa9d
	v_cndmask_b32_e64 v3, v37, v38, s16
	v_mul_f32_e32 v11, v5, v11
	v_fmac_f32_e32 v0, v0, v11
	v_fmaak_f32 v11, s50, v5, 0xbab64f3b
	v_fmaak_f32 v11, v5, v11, 0x3d2aabf7
	;; [unrolled: 1-line block ×3, first 2 shown]
	v_fma_f32 v5, v5, v11, 1.0
	v_and_b32_e32 v11, 1, v3
	v_lshlrev_b32_e32 v3, 30, v3
	v_cmp_eq_u32_e32 vcc_lo, 0, v11
	v_and_b32_e32 v3, 0x80000000, v3
	v_cndmask_b32_e32 v0, v5, v0, vcc_lo
	v_xor_b32_e32 v3, v3, v124
	v_xor3_b32 v0, v3, v0, v125
	v_cndmask_b32_e64 v0, 0x7fc00000, v0, s19
	v_fma_f32 v102, v8, v0, v21
	v_div_scale_f32 v0, null, v28, v28, v21
	v_rcp_f32_e32 v3, v0
	v_fma_f32 v5, -v0, v3, 1.0
	v_fmac_f32_e32 v3, v5, v3
	v_div_scale_f32 v5, vcc_lo, v21, v28, v21
	v_mul_f32_e32 v11, v5, v3
	v_fma_f32 v12, -v0, v11, v5
	v_fmac_f32_e32 v11, v12, v3
	v_fma_f32 v0, -v0, v11, v5
	v_div_fmas_f32 v0, v0, v3, v11
	v_div_fixup_f32 v113, v0, v28, v21
	v_and_b32_e32 v114, 0x7fffffff, v113
	v_cmp_gt_f32_e64 s12, 0x48000000, |v113|
	v_lshrrev_b32_e32 v0, 23, v114
	v_add_nc_u32_e32 v0, 0xffffff88, v0
	v_cmp_lt_u32_e32 vcc_lo, 63, v0
	v_cndmask_b32_e64 v3, 0, 0xffffffc0, vcc_lo
	v_add_nc_u32_e32 v0, v3, v0
	v_cmp_lt_u32_e64 s13, 31, v0
	v_cndmask_b32_e64 v3, 0, 0xffffffe0, s13
	v_add_nc_u32_e32 v0, v3, v0
	v_cmp_lt_u32_e64 s14, 31, v0
	v_cndmask_b32_e64 v3, 0, 0xffffffe0, s14
	v_add_nc_u32_e32 v0, v3, v0
	v_and_or_b32 v3, v114, s47, 0x800000
	v_cmp_eq_u32_e64 s15, 0, v0
	v_mad_u64_u32 v[11:12], null, 0xfe5163ab, v3, 0
	v_sub_nc_u32_e32 v0, 32, v0
	v_mov_b32_e32 v5, v12
	v_mad_u64_u32 v[26:27], null, 0x3c439041, v3, v[5:6]
	v_mov_b32_e32 v5, v27
	v_mad_u64_u32 v[29:30], null, 0xdb629599, v3, v[5:6]
	v_mov_b32_e32 v5, v30
	v_cndmask_b32_e32 v11, v29, v11, vcc_lo
	v_mad_u64_u32 v[32:33], null, 0xf534ddc0, v3, v[5:6]
	v_mov_b32_e32 v5, v33
	v_cndmask_b32_e32 v26, v32, v26, vcc_lo
	v_mad_u64_u32 v[36:37], null, 0xfc2757d1, v3, v[5:6]
	v_cndmask_b32_e64 v11, v26, v11, s13
	v_mov_b32_e32 v5, v37
	v_mad_u64_u32 v[37:38], null, 0x4e441529, v3, v[5:6]
	v_mov_b32_e32 v5, v38
	v_cndmask_b32_e32 v12, v37, v32, vcc_lo
	v_mad_u64_u32 v[43:44], null, 0xa2f9836e, v3, v[5:6]
	v_cndmask_b32_e32 v3, v43, v36, vcc_lo
	v_cndmask_b32_e32 v23, v44, v37, vcc_lo
	v_cndmask_b32_e64 v5, v3, v12, s13
	v_cndmask_b32_e64 v3, v23, v3, s13
	v_cndmask_b32_e32 v23, v36, v29, vcc_lo
	v_cndmask_b32_e64 v3, v3, v5, s14
	v_cndmask_b32_e64 v12, v12, v23, s13
	;; [unrolled: 1-line block ×3, first 2 shown]
	v_cmp_class_f32_e64 s13, v113, 0x1f8
	v_cndmask_b32_e64 v5, v5, v12, s14
	v_cndmask_b32_e64 v12, v12, v23, s14
	;; [unrolled: 1-line block ×3, first 2 shown]
	v_alignbit_b32 v27, v3, v5, v0
	v_cndmask_b32_e64 v3, v27, v3, s15
	v_alignbit_b32 v27, v5, v12, v0
	v_alignbit_b32 v0, v12, v11, v0
	v_bfe_u32 v32, v3, 29, 1
	v_cndmask_b32_e64 v5, v27, v5, s15
	v_cndmask_b32_e64 v0, v0, v12, s15
	v_lshrrev_b32_e32 v30, 29, v3
	v_sub_nc_u32_e32 v33, 0, v32
	v_alignbit_b32 v27, v3, v5, 30
	v_alignbit_b32 v5, v5, v0, 30
	;; [unrolled: 1-line block ×3, first 2 shown]
	v_xor_b32_e32 v27, v27, v33
	v_xor_b32_e32 v5, v5, v33
	;; [unrolled: 1-line block ×3, first 2 shown]
	v_ffbh_u32_e32 v12, v27
	v_min_u32_e32 v12, 32, v12
	v_sub_nc_u32_e32 v23, 31, v12
	v_alignbit_b32 v26, v27, v5, v23
	v_alignbit_b32 v0, v5, v0, v23
	;; [unrolled: 1-line block ×3, first 2 shown]
	v_ffbh_u32_e32 v11, v5
	v_min_u32_e32 v11, 32, v11
	v_not_b32_e32 v23, v11
	v_add_lshl_u32 v11, v11, v12, 23
	v_lshlrev_b32_e32 v12, 23, v12
	v_alignbit_b32 v0, v5, v0, v23
	v_lshlrev_b32_e32 v5, 31, v30
	v_lshrrev_b32_e32 v0, 9, v0
	v_or_b32_e32 v23, 0x33000000, v5
	v_or_b32_e32 v5, 0.5, v5
	v_sub_nc_u32_e32 v11, v23, v11
	v_sub_nc_u32_e32 v5, v5, v12
	v_or_b32_e32 v0, v11, v0
	v_lshrrev_b32_e32 v11, 9, v26
	v_or_b32_e32 v5, v11, v5
	v_mul_f32_e32 v11, 0x3fc90fda, v5
	v_fma_f32 v12, 0x3fc90fda, v5, -v11
	v_fmac_f32_e32 v12, 0x33a22168, v5
	v_fmac_f32_e32 v12, 0x3fc90fda, v0
	v_lshrrev_b32_e32 v0, 30, v3
	v_add_f32_e32 v116, v11, v12
	v_add_nc_u32_e32 v115, v32, v0
	v_mul_f32_e64 v0, 0x3f22f983, |v113|
	v_rndne_f32_e32 v0, v0
	v_fma_f32 v118, 0xbfc90fda, v0, |v113|
	v_cvt_i32_f32_e32 v117, v0
	v_fmac_f32_e32 v118, 0xb3a22168, v0
	v_fmac_f32_e32 v118, 0xa7c234c4, v0
	v_div_scale_f32 v0, null, v31, v31, v22
	v_rcp_f32_e32 v3, v0
	v_fma_f32 v5, -v0, v3, 1.0
	v_fmac_f32_e32 v3, v5, v3
	v_div_scale_f32 v5, vcc_lo, v22, v31, v22
	v_mul_f32_e32 v11, v5, v3
	v_fma_f32 v12, -v0, v11, v5
	v_fmac_f32_e32 v11, v12, v3
	v_fma_f32 v0, -v0, v11, v5
	v_div_fmas_f32 v0, v0, v3, v11
	v_div_fixup_f32 v119, v0, v31, v22
	v_and_b32_e32 v120, 0x7fffffff, v119
	v_cmp_gt_f32_e64 vcc_lo, 0x48000000, |v119|
	v_lshrrev_b32_e32 v0, 23, v120
	v_add_nc_u32_e32 v0, 0xffffff88, v0
	v_cmp_lt_u32_e64 s17, 63, v0
	v_cndmask_b32_e64 v3, 0, 0xffffffc0, s17
	v_add_nc_u32_e32 v0, v3, v0
	v_cmp_lt_u32_e64 s16, 31, v0
	v_cndmask_b32_e64 v3, 0, 0xffffffe0, s16
	;; [unrolled: 3-line block ×3, first 2 shown]
	v_add_nc_u32_e32 v0, v3, v0
	v_and_or_b32 v3, v120, s47, 0x800000
	v_sub_nc_u32_e32 v112, 32, v0
	v_mad_u64_u32 v[11:12], null, 0xfe5163ab, v3, 0
	v_cmp_eq_u32_e64 s14, 0, v0
	v_mov_b32_e32 v5, v12
	v_mad_u64_u32 v[26:27], null, 0x3c439041, v3, v[5:6]
	v_mov_b32_e32 v5, v27
	v_mad_u64_u32 v[29:30], null, 0xdb629599, v3, v[5:6]
	v_mov_b32_e32 v5, v30
	v_cndmask_b32_e64 v126, v29, v11, s17
	v_mad_u64_u32 v[32:33], null, 0xf534ddc0, v3, v[5:6]
	v_mov_b32_e32 v5, v33
	v_cndmask_b32_e64 v125, v32, v26, s17
	v_mad_u64_u32 v[36:37], null, 0xfc2757d1, v3, v[5:6]
	v_mov_b32_e32 v5, v37
	v_mad_u64_u32 v[37:38], null, 0x4e441529, v3, v[5:6]
	v_mov_b32_e32 v5, v38
	v_cndmask_b32_e64 v12, v37, v32, s17
	v_mad_u64_u32 v[43:44], null, 0xa2f9836e, v3, v[5:6]
	v_cndmask_b32_e64 v3, v43, v36, s17
	v_cndmask_b32_e64 v23, v44, v37, s17
	;; [unrolled: 1-line block ×10, first 2 shown]
	v_alignbit_b32 v0, v3, v27, v112
	v_cndmask_b32_e64 v5, v0, v3, s14
	v_alignbit_b32 v0, v27, v121, v112
	v_bfe_u32 v106, v5, 29, 1
	v_cndmask_b32_e64 v122, v0, v27, s14
	v_lshrrev_b32_e32 v107, 29, v5
	v_sub_nc_u32_e32 v111, 0, v106
	v_alignbit_b32 v0, v5, v122, 30
	v_xor_b32_e32 v123, v0, v111
	v_cndmask_b32_e64 v0, v125, v126, s16
	v_ffbh_u32_e32 v12, v123
	v_cndmask_b32_e64 v0, v124, v0, s15
	v_min_u32_e32 v12, 32, v12
	v_alignbit_b32 v3, v121, v0, v112
	v_sub_nc_u32_e32 v23, 31, v12
	v_cndmask_b32_e64 v3, v3, v121, s14
	v_cmp_class_f32_e64 s14, v119, 0x1f8
	v_alignbit_b32 v11, v122, v3, 30
	v_alignbit_b32 v0, v3, v0, 30
	v_xor_b32_e32 v11, v11, v111
	v_xor_b32_e32 v0, v0, v111
	v_alignbit_b32 v26, v123, v11, v23
	v_alignbit_b32 v0, v11, v0, v23
	;; [unrolled: 1-line block ×3, first 2 shown]
	v_ffbh_u32_e32 v11, v3
	v_min_u32_e32 v11, 32, v11
	v_not_b32_e32 v23, v11
	v_add_lshl_u32 v11, v11, v12, 23
	v_lshlrev_b32_e32 v12, 23, v12
	v_alignbit_b32 v0, v3, v0, v23
	v_lshlrev_b32_e32 v3, 31, v107
	v_lshrrev_b32_e32 v0, 9, v0
	v_or_b32_e32 v23, 0x33000000, v3
	v_or_b32_e32 v3, 0.5, v3
	v_sub_nc_u32_e32 v11, v23, v11
	v_sub_nc_u32_e32 v3, v3, v12
	v_fmaak_f32 v23, s49, v20, 0x3c0881c4
	v_or_b32_e32 v0, v11, v0
	v_lshrrev_b32_e32 v11, 9, v26
	v_fmaak_f32 v23, v20, v23, 0xbe2aaa9d
	v_or_b32_e32 v3, v11, v3
	v_mul_f32_e32 v23, v20, v23
	v_mul_f32_e32 v11, 0x3fc90fda, v3
	v_fmac_f32_e32 v103, v103, v23
	v_fmaak_f32 v23, s50, v20, 0xbab64f3b
	v_fma_f32 v12, 0x3fc90fda, v3, -v11
	v_fmaak_f32 v23, v20, v23, 0x3d2aabf7
	v_fmac_f32_e32 v12, 0x33a22168, v3
	v_fmaak_f32 v23, v20, v23, 0xbf000004
	v_fmac_f32_e32 v12, 0x3fc90fda, v0
	v_lshrrev_b32_e32 v0, 30, v5
	v_mul_f32_e64 v5, 0x3f22f983, |v119|
	v_add_f32_e32 v3, v11, v12
	v_cndmask_b32_e64 v12, v104, v105, s10
	v_fma_f32 v104, v20, v23, 1.0
	v_add_nc_u32_e32 v0, v106, v0
	v_rndne_f32_e32 v5, v5
	v_and_b32_e32 v105, 1, v12
	v_lshlrev_b32_e32 v12, 30, v12
	v_fma_f32 v11, 0xbfc90fda, v5, |v119|
	v_cmp_eq_u32_e64 s10, 0, v105
	v_and_b32_e32 v106, 0x80000000, v12
	v_fmac_f32_e32 v11, 0xb3a22168, v5
	v_cndmask_b32_e64 v20, -v103, v104, s10
	v_fmac_f32_e32 v11, 0xa7c234c4, v5
	v_cvt_i32_f32_e32 v5, v5
	v_xor_b32_e32 v12, v106, v20
	v_fmaak_f32 v20, s49, v19, 0x3c0881c4
	v_cndmask_b32_e32 v3, v3, v11, vcc_lo
	v_cndmask_b32_e32 v0, v0, v5, vcc_lo
	v_cndmask_b32_e64 v107, 0x7fc00000, v12, s6
	v_fmaak_f32 v20, v19, v20, 0xbe2aaa9d
	v_cndmask_b32_e64 v12, v109, v110, s11
	v_mul_f32_e32 v5, v3, v3
	v_mul_f32_e32 v20, v19, v20
	v_and_b32_e32 v110, 1, v12
	v_lshlrev_b32_e32 v12, 30, v12
	v_fmaak_f32 v11, s49, v5, 0x3c0881c4
	v_fmac_f32_e32 v108, v108, v20
	v_fmaak_f32 v20, s50, v19, 0xbab64f3b
	v_cmp_eq_u32_e64 s10, 0, v110
	v_and_b32_e32 v111, 0x80000000, v12
	v_fmaak_f32 v11, v5, v11, 0xbe2aaa9d
	v_fmaak_f32 v20, v19, v20, 0x3d2aabf7
	v_mul_f32_e32 v11, v5, v11
	v_fmaak_f32 v20, v19, v20, 0xbf000004
	v_fmac_f32_e32 v3, v3, v11
	v_fmaak_f32 v11, s50, v5, 0xbab64f3b
	v_fma_f32 v109, v19, v20, 1.0
	v_fmaak_f32 v11, v5, v11, 0x3d2aabf7
	v_cndmask_b32_e64 v19, -v108, v109, s10
	v_fmaak_f32 v11, v5, v11, 0xbf000004
	v_xor_b32_e32 v12, v111, v19
	v_cndmask_b32_e64 v19, v115, v117, s12
	v_mov_b32_e32 v115, 0
	v_fma_f32 v5, v5, v11, 1.0
	v_cndmask_b32_e64 v112, 0x7fc00000, v12, s7
	v_cndmask_b32_e64 v12, v116, v118, s12
	v_and_b32_e32 v11, 1, v0
	v_lshlrev_b32_e32 v0, 30, v0
	v_mul_f32_e32 v20, v12, v12
	v_cmp_eq_u32_e32 vcc_lo, 0, v11
	v_and_b32_e32 v0, 0x80000000, v0
	v_fmaak_f32 v23, s49, v20, 0x3c0881c4
	v_cndmask_b32_e32 v3, v5, v3, vcc_lo
	v_xor_b32_e32 v0, v0, v119
	v_fmaak_f32 v23, v20, v23, 0xbe2aaa9d
	v_xor3_b32 v0, v0, v3, v120
                                        ; implicit-def: $vgpr3
	v_mul_f32_e32 v23, v20, v23
	v_cndmask_b32_e64 v0, 0x7fc00000, v0, s14
	v_fmac_f32_e32 v12, v12, v23
	v_fmaak_f32 v23, s50, v20, 0xbab64f3b
	v_fma_f32 v116, v7, v0, v21
                                        ; implicit-def: $vgpr0
	v_fmaak_f32 v23, v20, v23, 0x3d2aabf7
	v_fmaak_f32 v23, v20, v23, 0xbf000004
	v_fma_f32 v20, v20, v23, 1.0
	v_and_b32_e32 v23, 1, v19
	v_lshlrev_b32_e32 v19, 30, v19
	v_cmp_eq_u32_e64 s10, 0, v23
	v_and_b32_e32 v19, 0x80000000, v19
	v_cndmask_b32_e64 v12, v20, v12, s10
	v_xor_b32_e32 v19, v19, v113
	v_xor3_b32 v12, v19, v12, v114
	v_mov_b32_e32 v114, 0
	v_cndmask_b32_e64 v12, 0x7fc00000, v12, s13
	v_fma_f32 v113, v1, v12, v22
	s_branch .LBB2_34
.LBB2_27:                               ;   in Loop: Header=BB2_34 Depth=2
	s_or_b32 exec_lo, exec_lo, s16
	s_waitcnt vmcnt(1)
	v_mov_b32_e32 v12, v3
	s_waitcnt vmcnt(0)
	v_mov_b32_e32 v5, v0
.LBB2_28:                               ;   in Loop: Header=BB2_34 Depth=2
	s_or_b32 exec_lo, exec_lo, s15
.LBB2_29:                               ;   in Loop: Header=BB2_34 Depth=2
	s_or_b32 exec_lo, exec_lo, s14
.LBB2_30:                               ;   in Loop: Header=BB2_34 Depth=2
	s_or_b32 exec_lo, exec_lo, s11
.LBB2_31:                               ;   in Loop: Header=BB2_34 Depth=2
	s_or_b32 exec_lo, exec_lo, s10
	s_waitcnt vmcnt(0)
	v_mov_b32_e32 v0, v5
	v_mov_b32_e32 v3, v12
.LBB2_32:                               ;   in Loop: Header=BB2_34 Depth=2
	s_or_b32 exec_lo, exec_lo, s13
	s_waitcnt vmcnt(0)
	v_fmac_f32_e32 v114, v117, v0
	v_fmac_f32_e32 v115, v117, v3
.LBB2_33:                               ;   in Loop: Header=BB2_34 Depth=2
	s_or_b32 exec_lo, exec_lo, s12
	s_add_i32 s44, s44, 1
	s_cmp_lg_u32 s44, 5
	s_cbranch_scc0 .LBB2_1
.LBB2_34:                               ;   Parent Loop BB2_2 Depth=1
                                        ; =>  This Loop Header: Depth=2
                                        ;       Child Loop BB2_154 Depth 3
                                        ;       Child Loop BB2_167 Depth 3
	s_lshl_b64 s[10:11], s[44:45], 3
	s_mov_b32 s12, exec_lo
	v_add_co_u32 v19, vcc_lo, v13, s10
	v_add_co_ci_u32_e64 v20, null, s11, v14, vcc_lo
	global_load_dword v117, v[19:20], off offset:4
	s_waitcnt vmcnt(0)
	v_cmpx_ngt_f32_e64 0x3c23d70a, |v117|
	s_cbranch_execz .LBB2_33
; %bb.35:                               ;   in Loop: Header=BB2_34 Depth=2
	global_load_dword v11, v[19:20], off
	s_mov_b32 s10, exec_lo
	s_waitcnt vmcnt(0)
	v_cmpx_lt_i32_e32 17, v11
	s_xor_b32 s13, exec_lo, s10
	s_cbranch_execz .LBB2_181
; %bb.36:                               ;   in Loop: Header=BB2_34 Depth=2
	s_mov_b32 s10, exec_lo
	v_cmpx_lt_i32_e32 33, v11
	s_xor_b32 s14, exec_lo, s10
	s_cbranch_execz .LBB2_122
; %bb.37:                               ;   in Loop: Header=BB2_34 Depth=2
	s_mov_b32 s10, exec_lo
	;; [unrolled: 5-line block ×6, first 2 shown]
	v_cmpx_eq_u32_e32 48, v11
	s_cbranch_execz .LBB2_43
; %bb.42:                               ;   in Loop: Header=BB2_34 Depth=2
	s_clause 0x1
	buffer_load_dword v3, off, s[56:59], 0 offset:12
	buffer_load_dword v0, off, s[56:59], 0 offset:8
.LBB2_43:                               ;   in Loop: Header=BB2_34 Depth=2
	s_or_b32 exec_lo, exec_lo, s11
.LBB2_44:                               ;   in Loop: Header=BB2_34 Depth=2
	s_andn2_saveexec_b32 s19, s10
	s_cbranch_execz .LBB2_54
; %bb.45:                               ;   in Loop: Header=BB2_34 Depth=2
	global_load_dword v0, v[9:10], off
                                        ; implicit-def: $vgpr12
	s_waitcnt vmcnt(0)
	v_mul_f32_e32 v0, v42, v0
	v_mul_f32_e32 v3, v117, v0
	v_and_b32_e32 v11, 0x7fffffff, v3
	v_cmp_ngt_f32_e64 s21, 0x48000000, |v3|
	v_lshrrev_b32_e32 v0, 23, v11
	v_and_or_b32 v19, v11, s47, 0x800000
	v_add_nc_u32_e32 v23, 0xffffff88, v0
                                        ; implicit-def: $vgpr0
	s_and_saveexec_b32 s10, s21
	s_xor_b32 s22, exec_lo, s10
	s_cbranch_execz .LBB2_47
; %bb.46:                               ;   in Loop: Header=BB2_34 Depth=2
	v_mad_u64_u32 v[26:27], null, 0xfe5163ab, v19, 0
	v_cmp_lt_u32_e32 vcc_lo, 63, v23
	v_cndmask_b32_e64 v0, 0, 0xffffffc0, vcc_lo
	v_mov_b32_e32 v5, v27
	v_add_nc_u32_e32 v0, v0, v23
	v_mad_u64_u32 v[29:30], null, 0x3c439041, v19, v[5:6]
	v_cmp_lt_u32_e64 s10, 31, v0
	v_mov_b32_e32 v5, v30
	v_cndmask_b32_e64 v12, 0, 0xffffffe0, s10
	v_mad_u64_u32 v[32:33], null, 0xdb629599, v19, v[5:6]
	v_add_nc_u32_e32 v0, v12, v0
	v_cmp_lt_u32_e64 s11, 31, v0
	v_mov_b32_e32 v5, v33
	v_cndmask_b32_e32 v26, v32, v26, vcc_lo
	v_mad_u64_u32 v[36:37], null, 0xf534ddc0, v19, v[5:6]
	v_mov_b32_e32 v5, v37
	v_mad_u64_u32 v[37:38], null, 0xfc2757d1, v19, v[5:6]
	v_mov_b32_e32 v5, v38
	v_cndmask_b32_e32 v30, v37, v32, vcc_lo
	v_mad_u64_u32 v[43:44], null, 0x4e441529, v19, v[5:6]
	v_mov_b32_e32 v5, v44
	v_cndmask_b32_e32 v12, v43, v36, vcc_lo
	v_mad_u64_u32 v[44:45], null, 0xa2f9836e, v19, v[5:6]
	v_cndmask_b32_e64 v5, 0, 0xffffffe0, s11
	v_add_nc_u32_e32 v0, v5, v0
	v_cndmask_b32_e32 v20, v44, v37, vcc_lo
	v_cndmask_b32_e32 v27, v45, v43, vcc_lo
	;; [unrolled: 1-line block ×3, first 2 shown]
	v_cmp_eq_u32_e32 vcc_lo, 0, v0
	v_cndmask_b32_e64 v29, v20, v12, s10
	v_cndmask_b32_e64 v20, v27, v20, s10
	;; [unrolled: 1-line block ×3, first 2 shown]
	v_sub_nc_u32_e32 v27, 32, v0
	v_cndmask_b32_e64 v30, v30, v5, s10
	v_cndmask_b32_e64 v5, v5, v26, s10
	;; [unrolled: 1-line block ×6, first 2 shown]
	v_alignbit_b32 v33, v20, v29, v27
	v_alignbit_b32 v32, v29, v12, v27
	;; [unrolled: 1-line block ×3, first 2 shown]
	v_cndmask_b32_e32 v0, v33, v20, vcc_lo
	v_cndmask_b32_e32 v20, v32, v29, vcc_lo
	v_cndmask_b32_e32 v12, v27, v12, vcc_lo
	v_bfe_u32 v26, v0, 29, 1
	v_alignbit_b32 v29, v0, v20, 30
	v_alignbit_b32 v20, v20, v12, 30
	;; [unrolled: 1-line block ×3, first 2 shown]
	v_sub_nc_u32_e32 v30, 0, v26
	v_xor_b32_e32 v29, v29, v30
	v_xor_b32_e32 v12, v20, v30
	;; [unrolled: 1-line block ×3, first 2 shown]
	v_lshrrev_b32_e32 v30, 29, v0
	v_lshrrev_b32_e32 v0, 30, v0
	v_ffbh_u32_e32 v27, v29
	v_add_nc_u32_e32 v0, v26, v0
	v_min_u32_e32 v27, 32, v27
	v_sub_nc_u32_e32 v20, 31, v27
	v_lshlrev_b32_e32 v32, 23, v27
	v_alignbit_b32 v29, v29, v12, v20
	v_alignbit_b32 v5, v12, v5, v20
	v_lshlrev_b32_e32 v12, 31, v30
	v_alignbit_b32 v20, v29, v5, 9
	v_or_b32_e32 v30, 0.5, v12
	v_lshrrev_b32_e32 v29, 9, v29
	v_or_b32_e32 v12, 0x33000000, v12
	v_ffbh_u32_e32 v33, v20
	v_sub_nc_u32_e32 v30, v30, v32
	v_min_u32_e32 v32, 32, v33
	v_or_b32_e32 v29, v29, v30
	v_not_b32_e32 v30, v32
	v_mul_f32_e32 v33, 0x3fc90fda, v29
	v_add_lshl_u32 v27, v32, v27, 23
	v_alignbit_b32 v5, v20, v5, v30
	v_fma_f32 v20, 0x3fc90fda, v29, -v33
	v_sub_nc_u32_e32 v12, v12, v27
	v_lshrrev_b32_e32 v5, 9, v5
	v_fmac_f32_e32 v20, 0x33a22168, v29
	v_or_b32_e32 v5, v12, v5
	v_fmac_f32_e32 v20, 0x3fc90fda, v5
	v_add_f32_e32 v12, v33, v20
.LBB2_47:                               ;   in Loop: Header=BB2_34 Depth=2
	s_or_saveexec_b32 s10, s22
	v_mul_f32_e64 v5, 0x3f22f983, |v3|
	v_rndne_f32_e32 v26, v5
	s_xor_b32 exec_lo, exec_lo, s10
; %bb.48:                               ;   in Loop: Header=BB2_34 Depth=2
	v_fma_f32 v12, 0xbfc90fda, v26, |v3|
	v_cvt_i32_f32_e32 v0, v26
	v_fmac_f32_e32 v12, 0xb3a22168, v26
	v_fmac_f32_e32 v12, 0xa7c234c4, v26
; %bb.49:                               ;   in Loop: Header=BB2_34 Depth=2
	s_or_b32 exec_lo, exec_lo, s10
                                        ; implicit-def: $vgpr5
                                        ; implicit-def: $vgpr20
	s_and_saveexec_b32 s10, s21
	s_xor_b32 s21, exec_lo, s10
	s_cbranch_execz .LBB2_51
; %bb.50:                               ;   in Loop: Header=BB2_34 Depth=2
	v_mad_u64_u32 v[26:27], null, 0xfe5163ab, v19, 0
	v_cmp_lt_u32_e32 vcc_lo, 63, v23
	v_cndmask_b32_e64 v20, 0, 0xffffffc0, vcc_lo
	v_mov_b32_e32 v5, v27
	v_add_nc_u32_e32 v20, v20, v23
	v_mad_u64_u32 v[29:30], null, 0x3c439041, v19, v[5:6]
	v_cmp_lt_u32_e64 s10, 31, v20
	v_mov_b32_e32 v5, v30
	v_cndmask_b32_e64 v23, 0, 0xffffffe0, s10
	v_mad_u64_u32 v[32:33], null, 0xdb629599, v19, v[5:6]
	v_add_nc_u32_e32 v23, v23, v20
	v_cmp_lt_u32_e64 s11, 31, v23
	v_mov_b32_e32 v5, v33
	v_cndmask_b32_e32 v26, v32, v26, vcc_lo
	v_mad_u64_u32 v[36:37], null, 0xf534ddc0, v19, v[5:6]
	v_mov_b32_e32 v5, v37
	v_mad_u64_u32 v[37:38], null, 0xfc2757d1, v19, v[5:6]
	v_mov_b32_e32 v5, v38
	v_cndmask_b32_e32 v30, v37, v32, vcc_lo
	v_mad_u64_u32 v[43:44], null, 0x4e441529, v19, v[5:6]
	v_mov_b32_e32 v5, v44
	v_cndmask_b32_e32 v27, v43, v36, vcc_lo
	v_mad_u64_u32 v[19:20], null, 0xa2f9836e, v19, v[5:6]
	v_cndmask_b32_e64 v5, 0, 0xffffffe0, s11
	v_add_nc_u32_e32 v5, v5, v23
	v_cndmask_b32_e32 v19, v19, v37, vcc_lo
	v_cndmask_b32_e32 v20, v20, v43, vcc_lo
	;; [unrolled: 1-line block ×3, first 2 shown]
	v_cmp_eq_u32_e32 vcc_lo, 0, v5
	v_cndmask_b32_e64 v29, v19, v27, s10
	v_cndmask_b32_e64 v19, v20, v19, s10
	;; [unrolled: 1-line block ×3, first 2 shown]
	v_sub_nc_u32_e32 v27, 32, v5
	v_cndmask_b32_e64 v30, v30, v23, s10
	v_cndmask_b32_e64 v19, v19, v29, s11
	;; [unrolled: 1-line block ×4, first 2 shown]
	v_alignbit_b32 v33, v19, v29, v27
	v_alignbit_b32 v32, v29, v20, v27
	v_cndmask_b32_e32 v5, v33, v19, vcc_lo
	v_cndmask_b32_e64 v19, v23, v26, s10
	v_cndmask_b32_e32 v23, v32, v29, vcc_lo
	v_bfe_u32 v26, v5, 29, 1
	v_cndmask_b32_e64 v19, v30, v19, s11
	v_alignbit_b32 v29, v5, v23, 30
	v_sub_nc_u32_e32 v30, 0, v26
	v_alignbit_b32 v27, v20, v19, v27
	v_xor_b32_e32 v29, v29, v30
	v_cndmask_b32_e32 v20, v27, v20, vcc_lo
	v_ffbh_u32_e32 v27, v29
	v_alignbit_b32 v23, v23, v20, 30
	v_alignbit_b32 v19, v20, v19, 30
	v_min_u32_e32 v27, 32, v27
	v_xor_b32_e32 v20, v23, v30
	v_xor_b32_e32 v19, v19, v30
	v_lshrrev_b32_e32 v30, 29, v5
	v_lshrrev_b32_e32 v5, 30, v5
	v_sub_nc_u32_e32 v23, 31, v27
	v_lshlrev_b32_e32 v32, 23, v27
	v_add_nc_u32_e32 v5, v26, v5
	v_alignbit_b32 v29, v29, v20, v23
	v_alignbit_b32 v19, v20, v19, v23
	v_lshlrev_b32_e32 v20, 31, v30
                                        ; implicit-def: $vgpr26
	v_alignbit_b32 v23, v29, v19, 9
	v_or_b32_e32 v30, 0.5, v20
	v_lshrrev_b32_e32 v29, 9, v29
	v_or_b32_e32 v20, 0x33000000, v20
	v_ffbh_u32_e32 v33, v23
	v_sub_nc_u32_e32 v30, v30, v32
	v_min_u32_e32 v32, 32, v33
	v_or_b32_e32 v29, v29, v30
	v_not_b32_e32 v30, v32
	v_mul_f32_e32 v33, 0x3fc90fda, v29
	v_add_lshl_u32 v27, v32, v27, 23
	v_alignbit_b32 v19, v23, v19, v30
	v_fma_f32 v23, 0x3fc90fda, v29, -v33
	v_sub_nc_u32_e32 v20, v20, v27
	v_lshrrev_b32_e32 v19, 9, v19
	v_fmac_f32_e32 v23, 0x33a22168, v29
	v_or_b32_e32 v19, v20, v19
	v_fmac_f32_e32 v23, 0x3fc90fda, v19
	v_add_f32_e32 v20, v33, v23
	s_andn2_saveexec_b32 s10, s21
	s_cbranch_execnz .LBB2_52
	s_branch .LBB2_53
.LBB2_51:                               ;   in Loop: Header=BB2_34 Depth=2
	s_andn2_saveexec_b32 s10, s21
.LBB2_52:                               ;   in Loop: Header=BB2_34 Depth=2
	v_fma_f32 v20, 0xbfc90fda, v26, |v3|
	v_cvt_i32_f32_e32 v5, v26
	v_fmac_f32_e32 v20, 0xb3a22168, v26
	v_fmac_f32_e32 v20, 0xa7c234c4, v26
.LBB2_53:                               ;   in Loop: Header=BB2_34 Depth=2
	s_or_b32 exec_lo, exec_lo, s10
	v_mul_f32_e32 v19, v3, v3
	v_cmp_gt_f32_e32 vcc_lo, 0x800000, v19
	v_cndmask_b32_e64 v23, 0, 32, vcc_lo
	v_ldexp_f32 v19, v19, v23
	v_log_f32_e32 v19, v19
	v_mul_f32_e32 v23, 0x3e9a209a, v19
	v_cmp_gt_f32_e64 s10, 0x7f800000, |v19|
	v_fma_f32 v23, 0x3e9a209a, v19, -v23
	v_fmac_f32_e32 v23, 0x3284fbcf, v19
	v_fmac_f32_e32 v23, 0x3e9a209a, v19
	v_cndmask_b32_e64 v19, v19, v23, s10
	v_cndmask_b32_e64 v23, 0, 0x411a209b, vcc_lo
	v_sub_f32_e32 v19, v19, v23
	v_mul_f32_e32 v23, v12, v12
	v_fmaak_f32 v26, s49, v23, 0x3c0881c4
	v_fmaak_f32 v26, v23, v26, 0xbe2aaa9d
	v_mul_f32_e32 v26, v23, v26
	v_fmac_f32_e32 v12, v12, v26
	v_fmaak_f32 v26, s50, v23, 0xbab64f3b
	v_fmaak_f32 v26, v23, v26, 0x3d2aabf7
	;; [unrolled: 1-line block ×3, first 2 shown]
	v_fma_f32 v23, v23, v26, 1.0
	v_and_b32_e32 v26, 1, v0
	v_lshlrev_b32_e32 v0, 30, v0
	v_cmp_eq_u32_e32 vcc_lo, 0, v26
	v_and_b32_e32 v0, 0x80000000, v0
	v_cndmask_b32_e64 v12, -v12, v23, vcc_lo
	v_cmp_class_f32_e64 vcc_lo, v3, 0x1f8
	v_xor_b32_e32 v3, v11, v3
	v_xor_b32_e32 v0, v0, v12
	v_cndmask_b32_e32 v0, 0x7fc00000, v0, vcc_lo
	v_add_f32_e32 v12, v19, v0
	v_mul_f32_e32 v19, v20, v20
	v_mul_f32_e32 v0, v22, v12
	v_fmaak_f32 v23, s49, v19, 0x3c0881c4
	v_fmaak_f32 v23, v19, v23, 0xbe2aaa9d
	v_mul_f32_e32 v23, v19, v23
	v_fmac_f32_e32 v20, v20, v23
	v_fmaak_f32 v23, s50, v19, 0xbab64f3b
	v_fmaak_f32 v23, v19, v23, 0x3d2aabf7
	;; [unrolled: 1-line block ×3, first 2 shown]
	v_fma_f32 v19, v19, v23, 1.0
	v_and_b32_e32 v23, 1, v5
	v_lshlrev_b32_e32 v5, 30, v5
	v_cmp_eq_u32_e64 s10, 0, v23
	v_and_b32_e32 v5, 0x80000000, v5
	v_cndmask_b32_e64 v19, v19, v20, s10
	v_xor3_b32 v3, v3, v5, v19
	v_mul_f32_e32 v3, 0x40490fdb, v3
	v_cndmask_b32_e32 v3, 0x7fc00000, v3, vcc_lo
	v_sub_f32_e32 v3, v12, v3
.LBB2_54:                               ;   in Loop: Header=BB2_34 Depth=2
	s_or_b32 exec_lo, exec_lo, s19
.LBB2_55:                               ;   in Loop: Header=BB2_34 Depth=2
	s_andn2_saveexec_b32 s17, s17
	s_cbranch_execz .LBB2_61
; %bb.56:                               ;   in Loop: Header=BB2_34 Depth=2
	s_waitcnt vmcnt(0)
	v_mul_f32_e32 v0, v42, v117
                                        ; implicit-def: $vgpr3
                                        ; implicit-def: $vgpr5
	s_mov_b32 s11, exec_lo
	v_cmpx_ngt_f32_e64 0x48000000, |v0|
	s_xor_b32 s19, exec_lo, s11
	s_cbranch_execz .LBB2_58
; %bb.57:                               ;   in Loop: Header=BB2_34 Depth=2
	v_and_b32_e32 v3, 0x7fffffff, v0
	v_and_or_b32 v23, v3, s47, 0x800000
	v_lshrrev_b32_e32 v3, 23, v3
	v_mad_u64_u32 v[11:12], null, 0xfe5163ab, v23, 0
	v_add_nc_u32_e32 v3, 0xffffff88, v3
	v_cmp_lt_u32_e32 vcc_lo, 63, v3
	v_mov_b32_e32 v5, v12
	v_cndmask_b32_e64 v12, 0, 0xffffffc0, vcc_lo
	v_mad_u64_u32 v[19:20], null, 0x3c439041, v23, v[5:6]
	v_add_nc_u32_e32 v3, v12, v3
	v_mov_b32_e32 v5, v20
	v_cmp_lt_u32_e64 s10, 31, v3
	v_mad_u64_u32 v[26:27], null, 0xdb629599, v23, v[5:6]
	v_cndmask_b32_e64 v12, 0, 0xffffffe0, s10
	v_add_nc_u32_e32 v3, v12, v3
	v_mov_b32_e32 v5, v27
	v_cndmask_b32_e32 v11, v26, v11, vcc_lo
	v_cmp_lt_u32_e64 s11, 31, v3
	v_mad_u64_u32 v[29:30], null, 0xf534ddc0, v23, v[5:6]
	v_mov_b32_e32 v5, v30
	v_mad_u64_u32 v[32:33], null, 0xfc2757d1, v23, v[5:6]
	v_mov_b32_e32 v5, v33
	v_cndmask_b32_e32 v27, v32, v26, vcc_lo
	v_mad_u64_u32 v[36:37], null, 0x4e441529, v23, v[5:6]
	v_mov_b32_e32 v5, v37
	v_cndmask_b32_e32 v12, v36, v29, vcc_lo
	v_mad_u64_u32 v[37:38], null, 0xa2f9836e, v23, v[5:6]
	v_cndmask_b32_e64 v5, 0, 0xffffffe0, s11
	v_add_nc_u32_e32 v3, v5, v3
	v_cndmask_b32_e32 v20, v37, v32, vcc_lo
	v_cndmask_b32_e32 v23, v38, v36, vcc_lo
	;; [unrolled: 1-line block ×3, first 2 shown]
	v_cmp_eq_u32_e32 vcc_lo, 0, v3
	v_cndmask_b32_e64 v19, v20, v12, s10
	v_cndmask_b32_e64 v20, v23, v20, s10
	v_cndmask_b32_e64 v12, v12, v27, s10
	v_sub_nc_u32_e32 v23, 32, v3
	v_cndmask_b32_e64 v27, v27, v5, s10
	v_cndmask_b32_e64 v5, v5, v11, s10
	;; [unrolled: 1-line block ×6, first 2 shown]
	v_alignbit_b32 v29, v20, v19, v23
	v_alignbit_b32 v26, v19, v12, v23
	;; [unrolled: 1-line block ×3, first 2 shown]
	v_cndmask_b32_e32 v3, v29, v20, vcc_lo
	v_cndmask_b32_e32 v11, v26, v19, vcc_lo
	;; [unrolled: 1-line block ×3, first 2 shown]
	v_bfe_u32 v19, v3, 29, 1
	v_alignbit_b32 v20, v3, v11, 30
	v_alignbit_b32 v11, v11, v12, 30
	v_alignbit_b32 v5, v12, v5, 30
	v_sub_nc_u32_e32 v26, 0, v19
	v_xor_b32_e32 v20, v20, v26
	v_xor_b32_e32 v11, v11, v26
	;; [unrolled: 1-line block ×3, first 2 shown]
	v_lshrrev_b32_e32 v26, 29, v3
	v_lshrrev_b32_e32 v3, 30, v3
	v_ffbh_u32_e32 v23, v20
	v_add_nc_u32_e32 v3, v19, v3
	v_min_u32_e32 v23, 32, v23
	v_sub_nc_u32_e32 v12, 31, v23
	v_lshlrev_b32_e32 v27, 23, v23
	v_alignbit_b32 v20, v20, v11, v12
	v_alignbit_b32 v5, v11, v5, v12
	v_lshlrev_b32_e32 v11, 31, v26
	v_alignbit_b32 v12, v20, v5, 9
	v_or_b32_e32 v26, 0.5, v11
	v_lshrrev_b32_e32 v20, 9, v20
	v_or_b32_e32 v11, 0x33000000, v11
	v_ffbh_u32_e32 v29, v12
	v_sub_nc_u32_e32 v26, v26, v27
	v_min_u32_e32 v27, 32, v29
	v_or_b32_e32 v20, v20, v26
	v_not_b32_e32 v26, v27
	v_mul_f32_e32 v29, 0x3fc90fda, v20
	v_add_lshl_u32 v23, v27, v23, 23
	v_alignbit_b32 v5, v12, v5, v26
	v_fma_f32 v12, 0x3fc90fda, v20, -v29
	v_sub_nc_u32_e32 v11, v11, v23
	v_lshrrev_b32_e32 v5, 9, v5
	v_fmac_f32_e32 v12, 0x33a22168, v20
	v_or_b32_e32 v5, v11, v5
	v_fmac_f32_e32 v12, 0x3fc90fda, v5
	v_add_f32_e32 v5, v29, v12
.LBB2_58:                               ;   in Loop: Header=BB2_34 Depth=2
	s_andn2_saveexec_b32 s10, s19
; %bb.59:                               ;   in Loop: Header=BB2_34 Depth=2
	v_mul_f32_e64 v3, 0x3f22f983, |v0|
	v_rndne_f32_e32 v3, v3
	v_fma_f32 v5, 0xbfc90fda, v3, |v0|
	v_fmac_f32_e32 v5, 0xb3a22168, v3
	v_fmac_f32_e32 v5, 0xa7c234c4, v3
	v_cvt_i32_f32_e32 v3, v3
; %bb.60:                               ;   in Loop: Header=BB2_34 Depth=2
	s_or_b32 exec_lo, exec_lo, s10
	v_mul_f32_e32 v11, v5, v5
	v_fmaak_f32 v12, s49, v11, 0x3c0881c4
	v_fmaak_f32 v12, v11, v12, 0xbe2aaa9d
	v_mul_f32_e32 v12, v11, v12
	v_fmac_f32_e32 v5, v5, v12
	v_fmaak_f32 v12, s50, v11, 0xbab64f3b
	v_fmaak_f32 v12, v11, v12, 0x3d2aabf7
	;; [unrolled: 1-line block ×3, first 2 shown]
	v_fma_f32 v11, v11, v12, 1.0
	v_and_b32_e32 v12, 1, v3
	v_lshlrev_b32_e32 v3, 30, v3
	v_cmp_eq_u32_e32 vcc_lo, 0, v12
	v_and_b32_e32 v3, 0x80000000, v3
	v_cndmask_b32_e64 v5, -v5, v11, vcc_lo
	v_cmp_class_f32_e64 vcc_lo, v0, 0x1f8
	v_xor_b32_e32 v3, v3, v5
	v_cndmask_b32_e32 v0, 0x7fc00000, v3, vcc_lo
	v_mul_f32_e32 v0, v117, v0
	v_div_scale_f32 v3, null, v0, v0, 1.0
	v_rcp_f32_e32 v5, v3
	v_fma_f32 v11, -v3, v5, 1.0
	v_fmac_f32_e32 v5, v11, v5
	v_div_scale_f32 v11, vcc_lo, 1.0, v0, 1.0
	v_mul_f32_e32 v12, v11, v5
	v_fma_f32 v19, -v3, v12, v11
	v_fmac_f32_e32 v12, v19, v5
	v_fma_f32 v3, -v3, v12, v11
	v_div_fmas_f32 v3, v3, v5, v12
	v_div_fixup_f32 v3, v3, v0, 1.0
	v_mov_b32_e32 v0, v22
.LBB2_61:                               ;   in Loop: Header=BB2_34 Depth=2
	s_or_b32 exec_lo, exec_lo, s17
                                        ; implicit-def: $vgpr11
.LBB2_62:                               ;   in Loop: Header=BB2_34 Depth=2
	s_andn2_saveexec_b32 s16, s16
	s_cbranch_execz .LBB2_88
; %bb.63:                               ;   in Loop: Header=BB2_34 Depth=2
                                        ; implicit-def: $vgpr3
                                        ; implicit-def: $vgpr0
	s_mov_b32 s10, exec_lo
	v_cmpx_lt_i32_e32 44, v11
	s_xor_b32 s17, exec_lo, s10
	s_cbranch_execz .LBB2_81
; %bb.64:                               ;   in Loop: Header=BB2_34 Depth=2
	global_load_dword v0, v[9:10], off
                                        ; implicit-def: $vgpr12
	s_waitcnt vmcnt(0)
	v_mul_f32_e32 v0, v42, v0
	v_mul_f32_e32 v3, v117, v0
	v_and_b32_e32 v11, 0x7fffffff, v3
	v_cmp_ngt_f32_e64 s19, 0x48000000, |v3|
	v_lshrrev_b32_e32 v0, 23, v11
	v_and_or_b32 v23, v11, s47, 0x800000
	v_add_nc_u32_e32 v26, 0xffffff88, v0
                                        ; implicit-def: $vgpr0
	s_and_saveexec_b32 s10, s19
	s_xor_b32 s21, exec_lo, s10
	s_cbranch_execz .LBB2_66
; %bb.65:                               ;   in Loop: Header=BB2_34 Depth=2
	v_mad_u64_u32 v[19:20], null, 0xfe5163ab, v23, 0
	v_cmp_lt_u32_e32 vcc_lo, 63, v26
	v_cndmask_b32_e64 v0, 0, 0xffffffc0, vcc_lo
	v_mov_b32_e32 v5, v20
	v_add_nc_u32_e32 v0, v0, v26
	v_mad_u64_u32 v[29:30], null, 0x3c439041, v23, v[5:6]
	v_cmp_lt_u32_e64 s10, 31, v0
	v_mov_b32_e32 v5, v30
	v_cndmask_b32_e64 v12, 0, 0xffffffe0, s10
	v_mad_u64_u32 v[32:33], null, 0xdb629599, v23, v[5:6]
	v_add_nc_u32_e32 v0, v12, v0
	v_cmp_lt_u32_e64 s11, 31, v0
	v_mov_b32_e32 v5, v33
	v_cndmask_b32_e32 v19, v32, v19, vcc_lo
	v_mad_u64_u32 v[36:37], null, 0xf534ddc0, v23, v[5:6]
	v_mov_b32_e32 v5, v37
	v_mad_u64_u32 v[37:38], null, 0xfc2757d1, v23, v[5:6]
	v_mov_b32_e32 v5, v38
	v_cndmask_b32_e32 v30, v37, v32, vcc_lo
	v_mad_u64_u32 v[43:44], null, 0x4e441529, v23, v[5:6]
	v_mov_b32_e32 v5, v44
	v_cndmask_b32_e32 v12, v43, v36, vcc_lo
	v_mad_u64_u32 v[44:45], null, 0xa2f9836e, v23, v[5:6]
	v_cndmask_b32_e64 v5, 0, 0xffffffe0, s11
	v_add_nc_u32_e32 v0, v5, v0
	v_cndmask_b32_e32 v20, v44, v37, vcc_lo
	v_cndmask_b32_e32 v27, v45, v43, vcc_lo
	;; [unrolled: 1-line block ×3, first 2 shown]
	v_cmp_eq_u32_e32 vcc_lo, 0, v0
	v_cndmask_b32_e64 v29, v20, v12, s10
	v_cndmask_b32_e64 v20, v27, v20, s10
	;; [unrolled: 1-line block ×3, first 2 shown]
	v_sub_nc_u32_e32 v27, 32, v0
	v_cndmask_b32_e64 v30, v30, v5, s10
	v_cndmask_b32_e64 v5, v5, v19, s10
	;; [unrolled: 1-line block ×6, first 2 shown]
	v_alignbit_b32 v33, v20, v29, v27
	v_alignbit_b32 v32, v29, v12, v27
	;; [unrolled: 1-line block ×3, first 2 shown]
	v_cndmask_b32_e32 v0, v33, v20, vcc_lo
	v_cndmask_b32_e32 v19, v32, v29, vcc_lo
	v_cndmask_b32_e32 v12, v27, v12, vcc_lo
	v_bfe_u32 v20, v0, 29, 1
	v_alignbit_b32 v29, v0, v19, 30
	v_alignbit_b32 v19, v19, v12, 30
	v_alignbit_b32 v5, v12, v5, 30
	v_sub_nc_u32_e32 v30, 0, v20
	v_xor_b32_e32 v29, v29, v30
	v_xor_b32_e32 v12, v19, v30
	;; [unrolled: 1-line block ×3, first 2 shown]
	v_lshrrev_b32_e32 v30, 29, v0
	v_ffbh_u32_e32 v27, v29
	v_min_u32_e32 v27, 32, v27
	v_sub_nc_u32_e32 v19, 31, v27
	v_lshlrev_b32_e32 v32, 23, v27
	v_alignbit_b32 v29, v29, v12, v19
	v_alignbit_b32 v5, v12, v5, v19
	v_lshlrev_b32_e32 v12, 31, v30
	v_alignbit_b32 v19, v29, v5, 9
	v_or_b32_e32 v30, 0.5, v12
	v_lshrrev_b32_e32 v29, 9, v29
	v_or_b32_e32 v12, 0x33000000, v12
	v_ffbh_u32_e32 v33, v19
	v_sub_nc_u32_e32 v30, v30, v32
	v_min_u32_e32 v32, 32, v33
	v_or_b32_e32 v29, v29, v30
	v_not_b32_e32 v30, v32
	v_mul_f32_e32 v33, 0x3fc90fda, v29
	v_add_lshl_u32 v27, v32, v27, 23
	v_alignbit_b32 v5, v19, v5, v30
	v_fma_f32 v19, 0x3fc90fda, v29, -v33
	v_sub_nc_u32_e32 v12, v12, v27
	v_lshrrev_b32_e32 v5, 9, v5
	v_fmac_f32_e32 v19, 0x33a22168, v29
	v_or_b32_e32 v5, v12, v5
	v_fmac_f32_e32 v19, 0x3fc90fda, v5
	v_lshrrev_b32_e32 v5, 30, v0
	v_add_f32_e32 v0, v33, v19
	v_add_nc_u32_e32 v12, v20, v5
.LBB2_66:                               ;   in Loop: Header=BB2_34 Depth=2
	s_or_saveexec_b32 s10, s21
	v_mul_f32_e64 v5, 0x3f22f983, |v3|
	v_rndne_f32_e32 v27, v5
	s_xor_b32 exec_lo, exec_lo, s10
; %bb.67:                               ;   in Loop: Header=BB2_34 Depth=2
	v_fma_f32 v0, 0xbfc90fda, v27, |v3|
	v_cvt_i32_f32_e32 v12, v27
	v_fmac_f32_e32 v0, 0xb3a22168, v27
	v_fmac_f32_e32 v0, 0xa7c234c4, v27
; %bb.68:                               ;   in Loop: Header=BB2_34 Depth=2
	s_or_b32 exec_lo, exec_lo, s10
                                        ; implicit-def: $vgpr20
                                        ; implicit-def: $vgpr19
	s_and_saveexec_b32 s10, s19
	s_xor_b32 s21, exec_lo, s10
	s_cbranch_execz .LBB2_70
; %bb.69:                               ;   in Loop: Header=BB2_34 Depth=2
	v_mad_u64_u32 v[19:20], null, 0xfe5163ab, v23, 0
	v_cmp_lt_u32_e32 vcc_lo, 63, v26
	v_mov_b32_e32 v5, v20
	v_cndmask_b32_e64 v20, 0, 0xffffffc0, vcc_lo
	v_mad_u64_u32 v[29:30], null, 0x3c439041, v23, v[5:6]
	v_add_nc_u32_e32 v20, v20, v26
	v_cmp_lt_u32_e64 s10, 31, v20
	v_mov_b32_e32 v5, v30
	v_cndmask_b32_e64 v30, 0, 0xffffffe0, s10
	v_mad_u64_u32 v[32:33], null, 0xdb629599, v23, v[5:6]
	v_add_nc_u32_e32 v20, v30, v20
	v_mov_b32_e32 v5, v33
	v_cmp_lt_u32_e64 s11, 31, v20
	v_cndmask_b32_e32 v19, v32, v19, vcc_lo
	v_mad_u64_u32 v[36:37], null, 0xf534ddc0, v23, v[5:6]
	v_mov_b32_e32 v5, v37
	v_mad_u64_u32 v[37:38], null, 0xfc2757d1, v23, v[5:6]
	v_mov_b32_e32 v5, v38
	;; [unrolled: 2-line block ×3, first 2 shown]
	v_cndmask_b32_e32 v30, v43, v36, vcc_lo
	v_mad_u64_u32 v[44:45], null, 0xa2f9836e, v23, v[5:6]
	v_cndmask_b32_e64 v5, 0, 0xffffffe0, s11
	v_add_nc_u32_e32 v5, v5, v20
	v_cndmask_b32_e32 v33, v44, v37, vcc_lo
	v_cndmask_b32_e32 v38, v45, v43, vcc_lo
	;; [unrolled: 1-line block ×4, first 2 shown]
	v_sub_nc_u32_e32 v36, 32, v5
	v_cndmask_b32_e64 v29, v33, v30, s10
	v_cndmask_b32_e64 v33, v38, v33, s10
	;; [unrolled: 1-line block ×4, first 2 shown]
	v_cmp_eq_u32_e32 vcc_lo, 0, v5
	v_cndmask_b32_e64 v19, v20, v19, s10
	v_cndmask_b32_e64 v33, v33, v29, s11
	;; [unrolled: 1-line block ×5, first 2 shown]
	v_alignbit_b32 v38, v33, v29, v36
	v_alignbit_b32 v32, v29, v30, v36
	;; [unrolled: 1-line block ×3, first 2 shown]
	v_cndmask_b32_e32 v5, v38, v33, vcc_lo
	v_cndmask_b32_e32 v20, v32, v29, vcc_lo
	;; [unrolled: 1-line block ×3, first 2 shown]
	v_bfe_u32 v29, v5, 29, 1
	v_alignbit_b32 v32, v5, v20, 30
	v_alignbit_b32 v20, v20, v30, 30
	;; [unrolled: 1-line block ×3, first 2 shown]
	v_sub_nc_u32_e32 v33, 0, v29
	v_xor_b32_e32 v32, v32, v33
	v_xor_b32_e32 v20, v20, v33
	;; [unrolled: 1-line block ×3, first 2 shown]
	v_lshrrev_b32_e32 v33, 29, v5
	v_lshrrev_b32_e32 v5, 30, v5
	v_ffbh_u32_e32 v36, v32
	v_min_u32_e32 v36, 32, v36
	v_sub_nc_u32_e32 v30, 31, v36
	v_lshlrev_b32_e32 v37, 23, v36
	v_alignbit_b32 v32, v32, v20, v30
	v_alignbit_b32 v19, v20, v19, v30
	v_lshlrev_b32_e32 v20, 31, v33
	v_alignbit_b32 v30, v32, v19, 9
	v_or_b32_e32 v33, 0.5, v20
	v_lshrrev_b32_e32 v32, 9, v32
	v_or_b32_e32 v20, 0x33000000, v20
	v_ffbh_u32_e32 v38, v30
	v_sub_nc_u32_e32 v33, v33, v37
	v_min_u32_e32 v37, 32, v38
	v_or_b32_e32 v32, v32, v33
	v_not_b32_e32 v33, v37
	v_mul_f32_e32 v38, 0x3fc90fda, v32
	v_add_lshl_u32 v36, v37, v36, 23
	v_alignbit_b32 v19, v30, v19, v33
	v_fma_f32 v30, 0x3fc90fda, v32, -v38
	v_sub_nc_u32_e32 v20, v20, v36
	v_lshrrev_b32_e32 v19, 9, v19
	v_fmac_f32_e32 v30, 0x33a22168, v32
	v_or_b32_e32 v19, v20, v19
	v_add_nc_u32_e32 v20, v29, v5
	v_fmac_f32_e32 v30, 0x3fc90fda, v19
	v_add_f32_e32 v19, v38, v30
	s_andn2_saveexec_b32 s10, s21
	s_branch .LBB2_71
.LBB2_70:                               ;   in Loop: Header=BB2_34 Depth=2
	s_andn2_saveexec_b32 s10, s21
.LBB2_71:                               ;   in Loop: Header=BB2_34 Depth=2
	v_fma_f32 v19, 0xbfc90fda, v27, |v3|
	v_cvt_i32_f32_e32 v20, v27
	v_fmac_f32_e32 v19, 0xb3a22168, v27
	v_fmac_f32_e32 v19, 0xa7c234c4, v27
; %bb.72:                               ;   in Loop: Header=BB2_34 Depth=2
	s_or_b32 exec_lo, exec_lo, s10
                                        ; implicit-def: $vgpr36
                                        ; implicit-def: $vgpr33
	s_and_saveexec_b32 s10, s19
	s_xor_b32 s21, exec_lo, s10
	s_cbranch_execz .LBB2_74
; %bb.73:                               ;   in Loop: Header=BB2_34 Depth=2
	v_mad_u64_u32 v[29:30], null, 0xfe5163ab, v23, 0
	v_cmp_lt_u32_e32 vcc_lo, 63, v26
	v_mov_b32_e32 v5, v30
	v_cndmask_b32_e64 v30, 0, 0xffffffc0, vcc_lo
	v_mad_u64_u32 v[32:33], null, 0x3c439041, v23, v[5:6]
	v_add_nc_u32_e32 v30, v30, v26
	v_cmp_lt_u32_e64 s10, 31, v30
	v_mov_b32_e32 v5, v33
	v_cndmask_b32_e64 v33, 0, 0xffffffe0, s10
	v_mad_u64_u32 v[36:37], null, 0xdb629599, v23, v[5:6]
	v_add_nc_u32_e32 v30, v33, v30
	v_mov_b32_e32 v5, v37
	v_cmp_lt_u32_e64 s11, 31, v30
	v_cndmask_b32_e32 v29, v36, v29, vcc_lo
	v_mad_u64_u32 v[37:38], null, 0xf534ddc0, v23, v[5:6]
	v_mov_b32_e32 v5, v38
	v_mad_u64_u32 v[43:44], null, 0xfc2757d1, v23, v[5:6]
	v_mov_b32_e32 v5, v44
	;; [unrolled: 2-line block ×3, first 2 shown]
	v_cndmask_b32_e32 v33, v44, v37, vcc_lo
	v_mad_u64_u32 v[118:119], null, 0xa2f9836e, v23, v[5:6]
	v_cndmask_b32_e64 v5, 0, 0xffffffe0, s11
	v_add_nc_u32_e32 v5, v5, v30
	v_cndmask_b32_e32 v38, v118, v43, vcc_lo
	v_cndmask_b32_e32 v44, v119, v44, vcc_lo
	;; [unrolled: 1-line block ×4, first 2 shown]
	v_cmp_eq_u32_e32 vcc_lo, 0, v5
	v_cndmask_b32_e64 v32, v38, v33, s10
	v_cndmask_b32_e64 v37, v44, v38, s10
	;; [unrolled: 1-line block ×3, first 2 shown]
	v_sub_nc_u32_e32 v38, 32, v5
	v_cndmask_b32_e64 v43, v43, v30, s10
	v_cndmask_b32_e64 v29, v30, v29, s10
	;; [unrolled: 1-line block ×6, first 2 shown]
	v_alignbit_b32 v44, v37, v32, v38
	v_alignbit_b32 v36, v32, v33, v38
	;; [unrolled: 1-line block ×3, first 2 shown]
	v_cndmask_b32_e32 v5, v44, v37, vcc_lo
	v_cndmask_b32_e32 v30, v36, v32, vcc_lo
	v_cndmask_b32_e32 v33, v38, v33, vcc_lo
	v_bfe_u32 v32, v5, 29, 1
	v_alignbit_b32 v36, v5, v30, 30
	v_alignbit_b32 v30, v30, v33, 30
	;; [unrolled: 1-line block ×3, first 2 shown]
	v_sub_nc_u32_e32 v37, 0, v32
	v_xor_b32_e32 v36, v36, v37
	v_xor_b32_e32 v30, v30, v37
	;; [unrolled: 1-line block ×3, first 2 shown]
	v_lshrrev_b32_e32 v37, 29, v5
	v_lshrrev_b32_e32 v5, 30, v5
	v_ffbh_u32_e32 v38, v36
	v_min_u32_e32 v38, 32, v38
	v_sub_nc_u32_e32 v33, 31, v38
	v_lshlrev_b32_e32 v43, 23, v38
	v_alignbit_b32 v36, v36, v30, v33
	v_alignbit_b32 v29, v30, v29, v33
	v_lshlrev_b32_e32 v30, 31, v37
	v_alignbit_b32 v33, v36, v29, 9
	v_or_b32_e32 v37, 0.5, v30
	v_lshrrev_b32_e32 v36, 9, v36
	v_or_b32_e32 v30, 0x33000000, v30
	v_ffbh_u32_e32 v44, v33
	v_sub_nc_u32_e32 v37, v37, v43
	v_min_u32_e32 v43, 32, v44
	v_or_b32_e32 v36, v36, v37
	v_not_b32_e32 v37, v43
	v_mul_f32_e32 v44, 0x3fc90fda, v36
	v_add_lshl_u32 v38, v43, v38, 23
	v_alignbit_b32 v29, v33, v29, v37
	v_fma_f32 v33, 0x3fc90fda, v36, -v44
	v_sub_nc_u32_e32 v30, v30, v38
	v_lshrrev_b32_e32 v29, 9, v29
	v_fmac_f32_e32 v33, 0x33a22168, v36
	v_add_nc_u32_e32 v36, v32, v5
	v_or_b32_e32 v29, v30, v29
	v_fmac_f32_e32 v33, 0x3fc90fda, v29
	v_add_f32_e32 v33, v44, v33
	s_andn2_saveexec_b32 s10, s21
	s_branch .LBB2_75
.LBB2_74:                               ;   in Loop: Header=BB2_34 Depth=2
	s_andn2_saveexec_b32 s10, s21
.LBB2_75:                               ;   in Loop: Header=BB2_34 Depth=2
	v_fma_f32 v33, 0xbfc90fda, v27, |v3|
	v_cvt_i32_f32_e32 v36, v27
	v_fmac_f32_e32 v33, 0xb3a22168, v27
	v_fmac_f32_e32 v33, 0xa7c234c4, v27
; %bb.76:                               ;   in Loop: Header=BB2_34 Depth=2
	s_or_b32 exec_lo, exec_lo, s10
                                        ; implicit-def: $vgpr5
                                        ; implicit-def: $vgpr32
	s_and_saveexec_b32 s10, s19
	s_xor_b32 s19, exec_lo, s10
	s_cbranch_execz .LBB2_78
; %bb.77:                               ;   in Loop: Header=BB2_34 Depth=2
	v_mad_u64_u32 v[29:30], null, 0xfe5163ab, v23, 0
	v_cmp_lt_u32_e32 vcc_lo, 63, v26
	v_cndmask_b32_e64 v27, 0, 0xffffffc0, vcc_lo
	v_mov_b32_e32 v5, v30
	v_add_nc_u32_e32 v30, v27, v26
	v_mad_u64_u32 v[37:38], null, 0x3c439041, v23, v[5:6]
	v_cmp_lt_u32_e64 s10, 31, v30
	v_mov_b32_e32 v5, v38
	v_cndmask_b32_e64 v32, 0, 0xffffffe0, s10
	v_mad_u64_u32 v[43:44], null, 0xdb629599, v23, v[5:6]
	v_mov_b32_e32 v5, v44
	v_cndmask_b32_e32 v29, v43, v29, vcc_lo
	v_mad_u64_u32 v[44:45], null, 0xf534ddc0, v23, v[5:6]
	v_mov_b32_e32 v5, v45
	v_mad_u64_u32 v[118:119], null, 0xfc2757d1, v23, v[5:6]
	v_mov_b32_e32 v5, v119
	v_mad_u64_u32 v[26:27], null, 0x4e441529, v23, v[5:6]
	v_mov_b32_e32 v5, v27
	v_add_nc_u32_e32 v27, v32, v30
	v_cndmask_b32_e32 v32, v118, v43, vcc_lo
	v_mad_u64_u32 v[119:120], null, 0xa2f9836e, v23, v[5:6]
	v_cmp_lt_u32_e64 s11, 31, v27
	v_cndmask_b32_e32 v23, v26, v44, vcc_lo
	v_cndmask_b32_e64 v5, 0, 0xffffffe0, s11
	v_cndmask_b32_e32 v30, v119, v118, vcc_lo
	v_cndmask_b32_e32 v26, v120, v26, vcc_lo
	v_add_nc_u32_e32 v5, v5, v27
	v_cndmask_b32_e32 v27, v44, v37, vcc_lo
	v_cndmask_b32_e64 v37, v30, v23, s10
	v_cndmask_b32_e64 v26, v26, v30, s10
	;; [unrolled: 1-line block ×3, first 2 shown]
	v_sub_nc_u32_e32 v30, 32, v5
	v_cndmask_b32_e64 v32, v32, v27, s10
	v_cmp_eq_u32_e32 vcc_lo, 0, v5
	v_cndmask_b32_e64 v26, v26, v37, s11
	v_cndmask_b32_e64 v37, v37, v23, s11
	v_cndmask_b32_e64 v23, v23, v32, s11
	v_alignbit_b32 v38, v26, v37, v30
	v_alignbit_b32 v43, v37, v23, v30
	v_cndmask_b32_e32 v5, v38, v26, vcc_lo
	v_cndmask_b32_e64 v26, v27, v29, s10
	v_cndmask_b32_e32 v27, v43, v37, vcc_lo
	v_bfe_u32 v29, v5, 29, 1
	v_cndmask_b32_e64 v26, v32, v26, s11
	v_alignbit_b32 v32, v5, v27, 30
	v_sub_nc_u32_e32 v37, 0, v29
	v_alignbit_b32 v30, v23, v26, v30
	v_xor_b32_e32 v32, v32, v37
	v_cndmask_b32_e32 v23, v30, v23, vcc_lo
	v_ffbh_u32_e32 v30, v32
	v_alignbit_b32 v27, v27, v23, 30
	v_alignbit_b32 v23, v23, v26, 30
	v_min_u32_e32 v30, 32, v30
	v_xor_b32_e32 v26, v27, v37
	v_xor_b32_e32 v23, v23, v37
	v_lshrrev_b32_e32 v37, 29, v5
	v_lshrrev_b32_e32 v5, 30, v5
	v_sub_nc_u32_e32 v27, 31, v30
	v_lshlrev_b32_e32 v38, 23, v30
	v_add_nc_u32_e32 v5, v29, v5
	v_alignbit_b32 v32, v32, v26, v27
	v_alignbit_b32 v23, v26, v23, v27
	v_lshlrev_b32_e32 v26, 31, v37
	v_alignbit_b32 v27, v32, v23, 9
	v_or_b32_e32 v37, 0.5, v26
	v_lshrrev_b32_e32 v32, 9, v32
	v_or_b32_e32 v26, 0x33000000, v26
	v_ffbh_u32_e32 v43, v27
	v_sub_nc_u32_e32 v37, v37, v38
	v_min_u32_e32 v38, 32, v43
	v_or_b32_e32 v32, v32, v37
	v_not_b32_e32 v37, v38
	v_mul_f32_e32 v43, 0x3fc90fda, v32
	v_add_lshl_u32 v30, v38, v30, 23
	v_alignbit_b32 v23, v27, v23, v37
	v_fma_f32 v27, 0x3fc90fda, v32, -v43
	v_sub_nc_u32_e32 v26, v26, v30
	v_lshrrev_b32_e32 v23, 9, v23
	v_fmac_f32_e32 v27, 0x33a22168, v32
	v_or_b32_e32 v23, v26, v23
	v_fmac_f32_e32 v27, 0x3fc90fda, v23
	v_add_f32_e32 v32, v43, v27
                                        ; implicit-def: $vgpr27
	s_andn2_saveexec_b32 s10, s19
	s_cbranch_execnz .LBB2_79
	s_branch .LBB2_80
.LBB2_78:                               ;   in Loop: Header=BB2_34 Depth=2
	s_andn2_saveexec_b32 s10, s19
.LBB2_79:                               ;   in Loop: Header=BB2_34 Depth=2
	v_fma_f32 v32, 0xbfc90fda, v27, |v3|
	v_cvt_i32_f32_e32 v5, v27
	v_fmac_f32_e32 v32, 0xb3a22168, v27
	v_fmac_f32_e32 v32, 0xa7c234c4, v27
.LBB2_80:                               ;   in Loop: Header=BB2_34 Depth=2
	s_or_b32 exec_lo, exec_lo, s10
	v_mul_f32_e32 v23, v33, v33
	v_fmaak_f32 v26, s49, v23, 0x3c0881c4
	v_fmaak_f32 v26, v23, v26, 0xbe2aaa9d
	v_mul_f32_e32 v26, v23, v26
	v_fmac_f32_e32 v33, v33, v26
	v_fmaak_f32 v26, s50, v23, 0xbab64f3b
	v_fmaak_f32 v26, v23, v26, 0x3d2aabf7
	;; [unrolled: 1-line block ×3, first 2 shown]
	v_fma_f32 v23, v23, v26, 1.0
	v_and_b32_e32 v26, 1, v36
	v_cmp_eq_u32_e32 vcc_lo, 0, v26
	v_lshlrev_b32_e32 v26, 30, v36
	v_cndmask_b32_e64 v23, -v33, v23, vcc_lo
	v_and_b32_e32 v26, 0x80000000, v26
	v_xor_b32_e32 v23, v26, v23
	v_mul_f32_e32 v26, v0, v0
	v_fmaak_f32 v27, s49, v26, 0x3c0881c4
	v_fmaak_f32 v27, v26, v27, 0xbe2aaa9d
	v_mul_f32_e32 v27, v26, v27
	v_fmac_f32_e32 v0, v0, v27
	v_fmaak_f32 v27, s50, v26, 0xbab64f3b
	v_fmaak_f32 v27, v26, v27, 0x3d2aabf7
	v_fmaak_f32 v27, v26, v27, 0xbf000004
	v_fma_f32 v26, v26, v27, 1.0
	v_and_b32_e32 v27, 1, v12
	v_lshlrev_b32_e32 v12, 30, v12
	v_cmp_eq_u32_e32 vcc_lo, 0, v27
	v_and_b32_e32 v12, 0x80000000, v12
	v_cndmask_b32_e64 v0, -v0, v26, vcc_lo
	v_cmp_class_f32_e64 vcc_lo, v3, 0x1f8
	v_xor_b32_e32 v0, v12, v0
	v_mul_f32_e32 v12, v19, v19
	v_fmaak_f32 v26, s49, v12, 0x3c0881c4
	v_fmaak_f32 v26, v12, v26, 0xbe2aaa9d
	v_mul_f32_e32 v26, v12, v26
	v_fmac_f32_e32 v19, v19, v26
	v_fmaak_f32 v26, s50, v12, 0xbab64f3b
	v_fmaak_f32 v26, v12, v26, 0x3d2aabf7
	v_fmaak_f32 v26, v12, v26, 0xbf000004
	v_fma_f32 v12, v12, v26, 1.0
	v_and_b32_e32 v26, 1, v20
	v_cmp_eq_u32_e64 s10, 0, v26
	v_cndmask_b32_e64 v12, v12, v19, s10
	v_lshlrev_b32_e32 v19, 30, v20
	v_and_b32_e32 v19, 0x80000000, v19
	v_xor_b32_e32 v19, v11, v19
	v_xor3_b32 v12, v19, v12, v3
	v_add_f32_e32 v0, v0, v12
	v_mul_f32_e32 v12, v32, v32
	v_cndmask_b32_e32 v0, 0x7fc00000, v0, vcc_lo
	v_fmaak_f32 v19, s49, v12, 0x3c0881c4
	v_mul_f32_e32 v0, v22, v0
	v_fmaak_f32 v19, v12, v19, 0xbe2aaa9d
	v_mul_f32_e32 v19, v12, v19
	v_fmac_f32_e32 v32, v32, v19
	v_fmaak_f32 v19, s50, v12, 0xbab64f3b
	v_fmaak_f32 v19, v12, v19, 0x3d2aabf7
	;; [unrolled: 1-line block ×3, first 2 shown]
	v_fma_f32 v12, v12, v19, 1.0
	v_and_b32_e32 v19, 1, v5
	v_lshlrev_b32_e32 v5, 30, v5
	v_cmp_eq_u32_e64 s10, 0, v19
	v_and_b32_e32 v5, 0x80000000, v5
	v_cndmask_b32_e64 v12, v12, v32, s10
	v_xor_b32_e32 v5, v11, v5
	v_xor3_b32 v3, v5, v12, v3
	v_sub_f32_e32 v3, v23, v3
	v_cndmask_b32_e32 v3, 0x7fc00000, v3, vcc_lo
	v_mul_f32_e32 v3, v22, v3
.LBB2_81:                               ;   in Loop: Header=BB2_34 Depth=2
	s_andn2_saveexec_b32 s17, s17
	s_cbranch_execz .LBB2_87
; %bb.82:                               ;   in Loop: Header=BB2_34 Depth=2
	global_load_dword v0, v[9:10], off
                                        ; implicit-def: $vgpr11
                                        ; implicit-def: $vgpr5
	s_mov_b32 s11, exec_lo
	s_waitcnt vmcnt(0)
	v_mul_f32_e32 v0, 0x40490fdb, v0
	v_mul_f32_e32 v0, v117, v0
	v_and_b32_e32 v3, 0x7fffffff, v0
	v_cmpx_ngt_f32_e64 0x48000000, |v0|
	s_xor_b32 s19, exec_lo, s11
	s_cbranch_execz .LBB2_84
; %bb.83:                               ;   in Loop: Header=BB2_34 Depth=2
	v_and_or_b32 v23, v3, s47, 0x800000
	v_mad_u64_u32 v[11:12], null, 0xfe5163ab, v23, 0
	v_mov_b32_e32 v5, v12
	v_lshrrev_b32_e32 v12, 23, v3
	v_mad_u64_u32 v[19:20], null, 0x3c439041, v23, v[5:6]
	v_add_nc_u32_e32 v12, 0xffffff88, v12
	v_cmp_lt_u32_e32 vcc_lo, 63, v12
	v_mov_b32_e32 v5, v20
	v_cndmask_b32_e64 v20, 0, 0xffffffc0, vcc_lo
	v_mad_u64_u32 v[26:27], null, 0xdb629599, v23, v[5:6]
	v_add_nc_u32_e32 v12, v20, v12
	v_mov_b32_e32 v5, v27
	v_cmp_lt_u32_e64 s10, 31, v12
	v_cndmask_b32_e32 v11, v26, v11, vcc_lo
	v_mad_u64_u32 v[29:30], null, 0xf534ddc0, v23, v[5:6]
	v_cndmask_b32_e64 v20, 0, 0xffffffe0, s10
	v_add_nc_u32_e32 v12, v20, v12
	v_mov_b32_e32 v5, v30
	v_cmp_lt_u32_e64 s11, 31, v12
	v_mad_u64_u32 v[32:33], null, 0xfc2757d1, v23, v[5:6]
	v_mov_b32_e32 v5, v33
	v_cndmask_b32_e32 v30, v32, v26, vcc_lo
	v_mad_u64_u32 v[36:37], null, 0x4e441529, v23, v[5:6]
	v_mov_b32_e32 v5, v37
	v_cndmask_b32_e32 v20, v36, v29, vcc_lo
	v_mad_u64_u32 v[37:38], null, 0xa2f9836e, v23, v[5:6]
	v_cndmask_b32_e64 v5, 0, 0xffffffe0, s11
	v_add_nc_u32_e32 v5, v5, v12
	v_cndmask_b32_e32 v23, v37, v32, vcc_lo
	v_cndmask_b32_e32 v27, v38, v36, vcc_lo
	;; [unrolled: 1-line block ×3, first 2 shown]
	v_cmp_eq_u32_e32 vcc_lo, 0, v5
	v_cndmask_b32_e64 v19, v23, v20, s10
	v_cndmask_b32_e64 v23, v27, v23, s10
	;; [unrolled: 1-line block ×3, first 2 shown]
	v_sub_nc_u32_e32 v27, 32, v5
	v_cndmask_b32_e64 v29, v30, v12, s10
	v_cndmask_b32_e64 v11, v12, v11, s10
	;; [unrolled: 1-line block ×6, first 2 shown]
	v_alignbit_b32 v30, v23, v19, v27
	v_alignbit_b32 v26, v19, v20, v27
	;; [unrolled: 1-line block ×3, first 2 shown]
	v_cndmask_b32_e32 v5, v30, v23, vcc_lo
	v_cndmask_b32_e32 v12, v26, v19, vcc_lo
	;; [unrolled: 1-line block ×3, first 2 shown]
	v_bfe_u32 v19, v5, 29, 1
	v_alignbit_b32 v23, v5, v12, 30
	v_alignbit_b32 v12, v12, v20, 30
	;; [unrolled: 1-line block ×3, first 2 shown]
	v_sub_nc_u32_e32 v26, 0, v19
	v_xor_b32_e32 v23, v23, v26
	v_xor_b32_e32 v12, v12, v26
	;; [unrolled: 1-line block ×3, first 2 shown]
	v_lshrrev_b32_e32 v26, 29, v5
	v_ffbh_u32_e32 v27, v23
	v_min_u32_e32 v27, 32, v27
	v_sub_nc_u32_e32 v20, 31, v27
	v_lshlrev_b32_e32 v29, 23, v27
	v_alignbit_b32 v23, v23, v12, v20
	v_alignbit_b32 v11, v12, v11, v20
	v_lshlrev_b32_e32 v12, 31, v26
	v_alignbit_b32 v20, v23, v11, 9
	v_or_b32_e32 v26, 0.5, v12
	v_lshrrev_b32_e32 v23, 9, v23
	v_or_b32_e32 v12, 0x33000000, v12
	v_ffbh_u32_e32 v30, v20
	v_sub_nc_u32_e32 v26, v26, v29
	v_min_u32_e32 v29, 32, v30
	v_or_b32_e32 v23, v23, v26
	v_not_b32_e32 v26, v29
	v_mul_f32_e32 v30, 0x3fc90fda, v23
	v_add_lshl_u32 v27, v29, v27, 23
	v_alignbit_b32 v11, v20, v11, v26
	v_fma_f32 v20, 0x3fc90fda, v23, -v30
	v_sub_nc_u32_e32 v12, v12, v27
	v_lshrrev_b32_e32 v11, 9, v11
	v_fmac_f32_e32 v20, 0x33a22168, v23
	v_or_b32_e32 v11, v12, v11
	v_fmac_f32_e32 v20, 0x3fc90fda, v11
	v_lshrrev_b32_e32 v11, 30, v5
	v_add_f32_e32 v5, v30, v20
	v_add_nc_u32_e32 v11, v19, v11
.LBB2_84:                               ;   in Loop: Header=BB2_34 Depth=2
	s_andn2_saveexec_b32 s10, s19
; %bb.85:                               ;   in Loop: Header=BB2_34 Depth=2
	v_mul_f32_e64 v5, 0x3f22f983, |v0|
	v_rndne_f32_e32 v11, v5
	v_fma_f32 v5, 0xbfc90fda, v11, |v0|
	v_fmac_f32_e32 v5, 0xb3a22168, v11
	v_fmac_f32_e32 v5, 0xa7c234c4, v11
	v_cvt_i32_f32_e32 v11, v11
; %bb.86:                               ;   in Loop: Header=BB2_34 Depth=2
	s_or_b32 exec_lo, exec_lo, s10
	v_mul_f32_e32 v12, v5, v5
	v_and_b32_e32 v11, 1, v11
	v_fmaak_f32 v20, s51, v12, 0xbf039337
	v_fmaak_f32 v19, s34, v12, 0x3ec54587
	v_cmp_eq_u32_e32 vcc_lo, 0, v11
	v_fmaak_f32 v20, v12, v20, 0x3f93f425
	v_rcp_f32_e32 v20, v20
	v_mul_f32_e32 v19, v19, v20
	v_mul_f32_e32 v12, v12, v19
	v_fma_f32 v19, v12, v5, v5
	v_sub_f32_e32 v20, v19, v5
	v_fma_f32 v5, v12, v5, -v20
	v_rcp_f32_e32 v12, v19
	v_fma_f32 v20, v19, -v12, 1.0
	v_fma_f32 v5, v5, -v12, v20
	v_fma_f32 v5, v5, -v12, -v12
	v_cndmask_b32_e32 v5, v5, v19, vcc_lo
	v_cmp_class_f32_e64 vcc_lo, v0, 0x1f8
	v_xor3_b32 v3, v3, v0, v5
	v_cndmask_b32_e32 v0, 0x7fc00000, v3, vcc_lo
	v_mul_f32_e32 v0, v117, v0
	v_div_scale_f32 v3, null, v40, v40, v0
	v_rcp_f32_e32 v5, v3
	v_fma_f32 v11, -v3, v5, 1.0
	v_fmac_f32_e32 v5, v11, v5
	v_div_scale_f32 v11, vcc_lo, v0, v40, v0
	v_mul_f32_e32 v12, v11, v5
	v_fma_f32 v19, -v3, v12, v11
	v_fmac_f32_e32 v12, v19, v5
	v_fma_f32 v3, -v3, v12, v11
	v_div_fmas_f32 v3, v3, v5, v12
	v_div_fixup_f32 v3, v3, v40, v0
	v_mul_f32_e32 v0, v63, v3
	v_mul_f32_e32 v3, v64, v3
.LBB2_87:                               ;   in Loop: Header=BB2_34 Depth=2
	s_or_b32 exec_lo, exec_lo, s17
.LBB2_88:                               ;   in Loop: Header=BB2_34 Depth=2
	s_or_b32 exec_lo, exec_lo, s16
                                        ; implicit-def: $vgpr11
.LBB2_89:                               ;   in Loop: Header=BB2_34 Depth=2
	s_andn2_saveexec_b32 s15, s15
	s_cbranch_execz .LBB2_121
; %bb.90:                               ;   in Loop: Header=BB2_34 Depth=2
	s_mov_b32 s10, exec_lo
	v_cmpx_lt_i32_e32 41, v11
	s_xor_b32 s10, exec_lo, s10
	s_cbranch_execz .LBB2_96
; %bb.91:                               ;   in Loop: Header=BB2_34 Depth=2
	s_mov_b32 s11, exec_lo
                                        ; implicit-def: $vgpr3
                                        ; implicit-def: $vgpr0
	v_cmpx_lt_i32_e32 42, v11
	s_xor_b32 s11, exec_lo, s11
	s_cbranch_execz .LBB2_93
; %bb.92:                               ;   in Loop: Header=BB2_34 Depth=2
	global_load_dword v0, v[9:10], off
	s_clause 0x1
	buffer_load_dword v11, off, s[56:59], 0 offset:40
	buffer_load_dword v12, off, s[56:59], 0 offset:44
	s_waitcnt vmcnt(2)
	v_add_f32_e32 v0, -0.5, v0
	s_waitcnt vmcnt(0)
	global_load_dword v3, v[11:12], off
	s_waitcnt vmcnt(0)
	v_add_f32_e32 v3, -0.5, v3
.LBB2_93:                               ;   in Loop: Header=BB2_34 Depth=2
	s_andn2_saveexec_b32 s11, s11
	s_cbranch_execz .LBB2_95
; %bb.94:                               ;   in Loop: Header=BB2_34 Depth=2
	s_waitcnt vmcnt(1)
	v_mov_b32_e32 v3, v62
	s_waitcnt vmcnt(0)
	v_mov_b32_e32 v0, v61
.LBB2_95:                               ;   in Loop: Header=BB2_34 Depth=2
	s_or_b32 exec_lo, exec_lo, s11
                                        ; implicit-def: $vgpr11
.LBB2_96:                               ;   in Loop: Header=BB2_34 Depth=2
	s_andn2_saveexec_b32 s16, s10
	s_cbranch_execz .LBB2_120
; %bb.97:                               ;   in Loop: Header=BB2_34 Depth=2
	s_mov_b32 s10, exec_lo
	v_cmpx_lt_i32_e32 40, v11
	s_xor_b32 s17, exec_lo, s10
	s_cbranch_execz .LBB2_107
; %bb.98:                               ;   in Loop: Header=BB2_34 Depth=2
	global_load_dword v0, v[9:10], off
                                        ; implicit-def: $vgpr12
                                        ; implicit-def: $vgpr11
	s_waitcnt vmcnt(0)
	v_mul_f32_e32 v0, 0x40490fdb, v0
	v_mul_f32_e32 v0, v117, v0
	v_and_b32_e32 v3, 0x7fffffff, v0
	v_cmp_ngt_f32_e64 s19, 0x48000000, |v0|
	v_lshrrev_b32_e32 v5, 23, v3
	v_and_or_b32 v19, v3, s47, 0x800000
	v_add_nc_u32_e32 v20, 0xffffff88, v5
	s_and_saveexec_b32 s10, s19
	s_xor_b32 s21, exec_lo, s10
	s_cbranch_execz .LBB2_100
; %bb.99:                               ;   in Loop: Header=BB2_34 Depth=2
	v_mad_u64_u32 v[11:12], null, 0xfe5163ab, v19, 0
	v_cmp_lt_u32_e32 vcc_lo, 63, v20
	v_mov_b32_e32 v5, v12
	v_cndmask_b32_e64 v12, 0, 0xffffffc0, vcc_lo
	v_mad_u64_u32 v[26:27], null, 0x3c439041, v19, v[5:6]
	v_add_nc_u32_e32 v12, v12, v20
	v_cmp_lt_u32_e64 s10, 31, v12
	v_mov_b32_e32 v5, v27
	v_cndmask_b32_e64 v23, 0, 0xffffffe0, s10
	v_mad_u64_u32 v[29:30], null, 0xdb629599, v19, v[5:6]
	v_add_nc_u32_e32 v12, v23, v12
	v_mov_b32_e32 v5, v30
	v_cmp_lt_u32_e64 s11, 31, v12
	v_cndmask_b32_e32 v11, v29, v11, vcc_lo
	v_mad_u64_u32 v[32:33], null, 0xf534ddc0, v19, v[5:6]
	v_mov_b32_e32 v5, v33
	v_mad_u64_u32 v[36:37], null, 0xfc2757d1, v19, v[5:6]
	v_mov_b32_e32 v5, v37
	v_cndmask_b32_e32 v33, v36, v29, vcc_lo
	v_mad_u64_u32 v[37:38], null, 0x4e441529, v19, v[5:6]
	v_mov_b32_e32 v5, v38
	v_cndmask_b32_e32 v23, v37, v32, vcc_lo
	v_mad_u64_u32 v[43:44], null, 0xa2f9836e, v19, v[5:6]
	v_cndmask_b32_e64 v5, 0, 0xffffffe0, s11
	v_add_nc_u32_e32 v5, v5, v12
	v_cndmask_b32_e32 v27, v43, v36, vcc_lo
	v_cndmask_b32_e32 v30, v44, v37, vcc_lo
	;; [unrolled: 1-line block ×3, first 2 shown]
	v_cmp_eq_u32_e32 vcc_lo, 0, v5
	v_cndmask_b32_e64 v26, v27, v23, s10
	v_cndmask_b32_e64 v27, v30, v27, s10
	;; [unrolled: 1-line block ×3, first 2 shown]
	v_sub_nc_u32_e32 v30, 32, v5
	v_cndmask_b32_e64 v32, v33, v12, s10
	v_cndmask_b32_e64 v11, v12, v11, s10
	;; [unrolled: 1-line block ×6, first 2 shown]
	v_alignbit_b32 v33, v27, v26, v30
	v_alignbit_b32 v29, v26, v23, v30
	;; [unrolled: 1-line block ×3, first 2 shown]
	v_cndmask_b32_e32 v5, v33, v27, vcc_lo
	v_cndmask_b32_e32 v12, v29, v26, vcc_lo
	;; [unrolled: 1-line block ×3, first 2 shown]
	v_bfe_u32 v26, v5, 29, 1
	v_alignbit_b32 v27, v5, v12, 30
	v_alignbit_b32 v12, v12, v23, 30
	;; [unrolled: 1-line block ×3, first 2 shown]
	v_sub_nc_u32_e32 v29, 0, v26
	v_xor_b32_e32 v27, v27, v29
	v_xor_b32_e32 v12, v12, v29
	;; [unrolled: 1-line block ×3, first 2 shown]
	v_lshrrev_b32_e32 v29, 29, v5
	v_lshrrev_b32_e32 v5, 30, v5
	v_ffbh_u32_e32 v30, v27
	v_min_u32_e32 v30, 32, v30
	v_sub_nc_u32_e32 v23, 31, v30
	v_lshlrev_b32_e32 v32, 23, v30
	v_alignbit_b32 v27, v27, v12, v23
	v_alignbit_b32 v11, v12, v11, v23
	v_lshlrev_b32_e32 v12, 31, v29
	v_alignbit_b32 v23, v27, v11, 9
	v_or_b32_e32 v29, 0.5, v12
	v_lshrrev_b32_e32 v27, 9, v27
	v_or_b32_e32 v12, 0x33000000, v12
	v_ffbh_u32_e32 v33, v23
	v_sub_nc_u32_e32 v29, v29, v32
	v_min_u32_e32 v32, 32, v33
	v_or_b32_e32 v27, v27, v29
	v_not_b32_e32 v29, v32
	v_mul_f32_e32 v33, 0x3fc90fda, v27
	v_add_lshl_u32 v30, v32, v30, 23
	v_alignbit_b32 v11, v23, v11, v29
	v_fma_f32 v23, 0x3fc90fda, v27, -v33
	v_sub_nc_u32_e32 v12, v12, v30
	v_lshrrev_b32_e32 v11, 9, v11
	v_fmac_f32_e32 v23, 0x33a22168, v27
	v_or_b32_e32 v11, v12, v11
	v_add_nc_u32_e32 v12, v26, v5
	v_fmac_f32_e32 v23, 0x3fc90fda, v11
	v_add_f32_e32 v11, v33, v23
.LBB2_100:                              ;   in Loop: Header=BB2_34 Depth=2
	s_or_saveexec_b32 s10, s21
	v_mul_f32_e64 v5, 0x3f22f983, |v0|
	v_rndne_f32_e32 v26, v5
	s_xor_b32 exec_lo, exec_lo, s10
; %bb.101:                              ;   in Loop: Header=BB2_34 Depth=2
	v_fma_f32 v11, 0xbfc90fda, v26, |v0|
	v_cvt_i32_f32_e32 v12, v26
	v_fmac_f32_e32 v11, 0xb3a22168, v26
	v_fmac_f32_e32 v11, 0xa7c234c4, v26
; %bb.102:                              ;   in Loop: Header=BB2_34 Depth=2
	s_or_b32 exec_lo, exec_lo, s10
                                        ; implicit-def: $vgpr5
                                        ; implicit-def: $vgpr23
	s_and_saveexec_b32 s10, s19
	s_xor_b32 s19, exec_lo, s10
	s_cbranch_execz .LBB2_104
; %bb.103:                              ;   in Loop: Header=BB2_34 Depth=2
	v_mad_u64_u32 v[26:27], null, 0xfe5163ab, v19, 0
	v_cmp_lt_u32_e32 vcc_lo, 63, v20
	v_cndmask_b32_e64 v23, 0, 0xffffffc0, vcc_lo
	v_mov_b32_e32 v5, v27
	v_add_nc_u32_e32 v20, v23, v20
	v_mad_u64_u32 v[29:30], null, 0x3c439041, v19, v[5:6]
	v_cmp_lt_u32_e64 s10, 31, v20
	v_mov_b32_e32 v5, v30
	v_cndmask_b32_e64 v23, 0, 0xffffffe0, s10
	v_mad_u64_u32 v[32:33], null, 0xdb629599, v19, v[5:6]
	v_add_nc_u32_e32 v23, v23, v20
	v_cmp_lt_u32_e64 s11, 31, v23
	v_mov_b32_e32 v5, v33
	v_cndmask_b32_e32 v26, v32, v26, vcc_lo
	v_mad_u64_u32 v[36:37], null, 0xf534ddc0, v19, v[5:6]
	v_mov_b32_e32 v5, v37
	v_mad_u64_u32 v[37:38], null, 0xfc2757d1, v19, v[5:6]
	v_mov_b32_e32 v5, v38
	v_cndmask_b32_e32 v30, v37, v32, vcc_lo
	v_mad_u64_u32 v[43:44], null, 0x4e441529, v19, v[5:6]
	v_mov_b32_e32 v5, v44
	v_cndmask_b32_e32 v27, v43, v36, vcc_lo
	v_mad_u64_u32 v[19:20], null, 0xa2f9836e, v19, v[5:6]
	v_cndmask_b32_e64 v5, 0, 0xffffffe0, s11
	v_add_nc_u32_e32 v5, v5, v23
	v_cndmask_b32_e32 v19, v19, v37, vcc_lo
	v_cndmask_b32_e32 v20, v20, v43, vcc_lo
	;; [unrolled: 1-line block ×3, first 2 shown]
	v_cmp_eq_u32_e32 vcc_lo, 0, v5
	v_cndmask_b32_e64 v29, v19, v27, s10
	v_cndmask_b32_e64 v19, v20, v19, s10
	;; [unrolled: 1-line block ×3, first 2 shown]
	v_sub_nc_u32_e32 v27, 32, v5
	v_cndmask_b32_e64 v30, v30, v23, s10
	v_cndmask_b32_e64 v19, v19, v29, s11
	v_cndmask_b32_e64 v29, v29, v20, s11
	v_cndmask_b32_e64 v20, v20, v30, s11
	v_alignbit_b32 v33, v19, v29, v27
	v_alignbit_b32 v32, v29, v20, v27
	v_cndmask_b32_e32 v5, v33, v19, vcc_lo
	v_cndmask_b32_e64 v19, v23, v26, s10
	v_cndmask_b32_e32 v23, v32, v29, vcc_lo
	v_bfe_u32 v26, v5, 29, 1
	v_cndmask_b32_e64 v19, v30, v19, s11
	v_alignbit_b32 v29, v5, v23, 30
	v_sub_nc_u32_e32 v30, 0, v26
	v_alignbit_b32 v27, v20, v19, v27
	v_xor_b32_e32 v29, v29, v30
	v_cndmask_b32_e32 v20, v27, v20, vcc_lo
	v_ffbh_u32_e32 v27, v29
	v_alignbit_b32 v23, v23, v20, 30
	v_alignbit_b32 v19, v20, v19, 30
	v_min_u32_e32 v27, 32, v27
	v_xor_b32_e32 v20, v23, v30
	v_xor_b32_e32 v19, v19, v30
	v_lshrrev_b32_e32 v30, 29, v5
	v_lshrrev_b32_e32 v5, 30, v5
	v_sub_nc_u32_e32 v23, 31, v27
	v_lshlrev_b32_e32 v32, 23, v27
	v_add_nc_u32_e32 v5, v26, v5
	v_alignbit_b32 v29, v29, v20, v23
	v_alignbit_b32 v19, v20, v19, v23
	v_lshlrev_b32_e32 v20, 31, v30
                                        ; implicit-def: $vgpr26
	v_alignbit_b32 v23, v29, v19, 9
	v_or_b32_e32 v30, 0.5, v20
	v_lshrrev_b32_e32 v29, 9, v29
	v_or_b32_e32 v20, 0x33000000, v20
	v_ffbh_u32_e32 v33, v23
	v_sub_nc_u32_e32 v30, v30, v32
	v_min_u32_e32 v32, 32, v33
	v_or_b32_e32 v29, v29, v30
	v_not_b32_e32 v30, v32
	v_mul_f32_e32 v33, 0x3fc90fda, v29
	v_add_lshl_u32 v27, v32, v27, 23
	v_alignbit_b32 v19, v23, v19, v30
	v_fma_f32 v23, 0x3fc90fda, v29, -v33
	v_sub_nc_u32_e32 v20, v20, v27
	v_lshrrev_b32_e32 v19, 9, v19
	v_fmac_f32_e32 v23, 0x33a22168, v29
	v_or_b32_e32 v19, v20, v19
	v_fmac_f32_e32 v23, 0x3fc90fda, v19
	v_add_f32_e32 v23, v33, v23
	s_andn2_saveexec_b32 s10, s19
	s_cbranch_execnz .LBB2_105
	s_branch .LBB2_106
.LBB2_104:                              ;   in Loop: Header=BB2_34 Depth=2
	s_andn2_saveexec_b32 s10, s19
.LBB2_105:                              ;   in Loop: Header=BB2_34 Depth=2
	v_fma_f32 v23, 0xbfc90fda, v26, |v0|
	v_cvt_i32_f32_e32 v5, v26
	v_fmac_f32_e32 v23, 0xb3a22168, v26
	v_fmac_f32_e32 v23, 0xa7c234c4, v26
.LBB2_106:                              ;   in Loop: Header=BB2_34 Depth=2
	s_or_b32 exec_lo, exec_lo, s10
	v_mul_f32_e32 v19, v11, v11
	v_xor_b32_e32 v3, v3, v0
	v_fmaak_f32 v20, s49, v19, 0x3c0881c4
	v_fmaak_f32 v20, v19, v20, 0xbe2aaa9d
	v_mul_f32_e32 v20, v19, v20
	v_fmac_f32_e32 v11, v11, v20
	v_fmaak_f32 v20, s50, v19, 0xbab64f3b
	v_fmaak_f32 v20, v19, v20, 0x3d2aabf7
	;; [unrolled: 1-line block ×3, first 2 shown]
	v_fma_f32 v19, v19, v20, 1.0
	v_and_b32_e32 v20, 1, v12
	v_lshlrev_b32_e32 v12, 30, v12
	v_cmp_eq_u32_e32 vcc_lo, 0, v20
	v_and_b32_e32 v12, 0x80000000, v12
	v_cndmask_b32_e32 v11, v19, v11, vcc_lo
	v_cmp_class_f32_e64 vcc_lo, v0, 0x1f8
	v_xor3_b32 v3, v3, v12, v11
	v_mul_f32_e32 v11, v23, v23
	v_cndmask_b32_e32 v0, 0x7fc00000, v3, vcc_lo
	v_fmaak_f32 v12, s49, v11, 0x3c0881c4
	v_mul_f32_e32 v3, v0, v0
	v_fmaak_f32 v12, v11, v12, 0xbe2aaa9d
	v_mul_f32_e32 v12, v11, v12
	v_fmac_f32_e32 v23, v23, v12
	v_fmaak_f32 v12, s50, v11, 0xbab64f3b
	v_fmaak_f32 v12, v11, v12, 0x3d2aabf7
	;; [unrolled: 1-line block ×3, first 2 shown]
	v_fma_f32 v11, v11, v12, 1.0
	v_and_b32_e32 v12, 1, v5
	v_lshlrev_b32_e32 v5, 30, v5
	v_cmp_eq_u32_e64 s10, 0, v12
	v_and_b32_e32 v5, 0x80000000, v5
	v_cndmask_b32_e64 v11, -v23, v11, s10
	v_xor_b32_e32 v5, v5, v11
	v_cndmask_b32_e32 v5, 0x7fc00000, v5, vcc_lo
	v_div_scale_f32 v11, null, v5, v5, v3
	v_rcp_f32_e32 v12, v11
	v_fma_f32 v19, -v11, v12, 1.0
	v_fmac_f32_e32 v12, v19, v12
	v_div_scale_f32 v19, vcc_lo, v3, v5, v3
	v_mul_f32_e32 v20, v19, v12
	v_fma_f32 v23, -v11, v20, v19
	v_fmac_f32_e32 v20, v23, v12
	v_fma_f32 v11, -v11, v20, v19
	v_div_fmas_f32 v11, v11, v12, v20
	v_div_fixup_f32 v3, v11, v5, v3
                                        ; implicit-def: $vgpr11
.LBB2_107:                              ;   in Loop: Header=BB2_34 Depth=2
	s_andn2_saveexec_b32 s17, s17
	s_cbranch_execz .LBB2_119
; %bb.108:                              ;   in Loop: Header=BB2_34 Depth=2
	s_mov_b32 s19, exec_lo
	v_cmpx_eq_u32_e32 34, v11
	s_cbranch_execz .LBB2_118
; %bb.109:                              ;   in Loop: Header=BB2_34 Depth=2
	global_load_dword v0, v[9:10], off
	s_clause 0x1
	buffer_load_dword v11, off, s[56:59], 0 offset:40
	buffer_load_dword v12, off, s[56:59], 0 offset:44
                                        ; implicit-def: $vgpr19
	s_waitcnt vmcnt(2)
	v_add_f32_e32 v0, v0, v0
	s_waitcnt vmcnt(0)
	global_load_dword v3, v[11:12], off
	v_mul_f32_e32 v11, 0x40490fdb, v0
	v_and_b32_e32 v12, 0x7fffffff, v11
	v_cmp_ngt_f32_e64 s21, 0x48000000, |v11|
	v_lshrrev_b32_e32 v0, 23, v12
	v_and_or_b32 v20, v12, s47, 0x800000
	v_add_nc_u32_e32 v23, 0xffffff88, v0
                                        ; implicit-def: $vgpr0
	s_and_saveexec_b32 s10, s21
	s_xor_b32 s22, exec_lo, s10
	s_cbranch_execz .LBB2_111
; %bb.110:                              ;   in Loop: Header=BB2_34 Depth=2
	v_mad_u64_u32 v[26:27], null, 0xfe5163ab, v20, 0
	v_cmp_lt_u32_e32 vcc_lo, 63, v23
	v_cndmask_b32_e64 v0, 0, 0xffffffc0, vcc_lo
	v_mov_b32_e32 v5, v27
	v_add_nc_u32_e32 v0, v0, v23
	v_mad_u64_u32 v[29:30], null, 0x3c439041, v20, v[5:6]
	v_cmp_lt_u32_e64 s10, 31, v0
	v_mov_b32_e32 v5, v30
	v_cndmask_b32_e64 v19, 0, 0xffffffe0, s10
	v_mad_u64_u32 v[32:33], null, 0xdb629599, v20, v[5:6]
	v_add_nc_u32_e32 v0, v19, v0
	v_cmp_lt_u32_e64 s11, 31, v0
	v_mov_b32_e32 v5, v33
	v_cndmask_b32_e32 v26, v32, v26, vcc_lo
	v_mad_u64_u32 v[36:37], null, 0xf534ddc0, v20, v[5:6]
	v_mov_b32_e32 v5, v37
	v_mad_u64_u32 v[37:38], null, 0xfc2757d1, v20, v[5:6]
	v_mov_b32_e32 v5, v38
	v_cndmask_b32_e32 v33, v37, v32, vcc_lo
	v_mad_u64_u32 v[43:44], null, 0x4e441529, v20, v[5:6]
	v_mov_b32_e32 v5, v44
	v_cndmask_b32_e32 v19, v43, v36, vcc_lo
	v_mad_u64_u32 v[44:45], null, 0xa2f9836e, v20, v[5:6]
	v_cndmask_b32_e64 v5, 0, 0xffffffe0, s11
	v_add_nc_u32_e32 v0, v5, v0
	v_cndmask_b32_e32 v27, v44, v37, vcc_lo
	v_cndmask_b32_e32 v30, v45, v43, vcc_lo
	;; [unrolled: 1-line block ×3, first 2 shown]
	v_cmp_eq_u32_e32 vcc_lo, 0, v0
	v_cndmask_b32_e64 v29, v27, v19, s10
	v_cndmask_b32_e64 v27, v30, v27, s10
	;; [unrolled: 1-line block ×3, first 2 shown]
	v_sub_nc_u32_e32 v30, 32, v0
	v_cndmask_b32_e64 v33, v33, v5, s10
	v_cndmask_b32_e64 v5, v5, v26, s10
	;; [unrolled: 1-line block ×6, first 2 shown]
	v_alignbit_b32 v36, v27, v29, v30
	v_alignbit_b32 v32, v29, v19, v30
	;; [unrolled: 1-line block ×3, first 2 shown]
	v_cndmask_b32_e32 v0, v36, v27, vcc_lo
	v_cndmask_b32_e32 v26, v32, v29, vcc_lo
	;; [unrolled: 1-line block ×3, first 2 shown]
	v_bfe_u32 v27, v0, 29, 1
	v_alignbit_b32 v29, v0, v26, 30
	v_alignbit_b32 v26, v26, v19, 30
	;; [unrolled: 1-line block ×3, first 2 shown]
	v_sub_nc_u32_e32 v32, 0, v27
	v_xor_b32_e32 v29, v29, v32
	v_xor_b32_e32 v19, v26, v32
	;; [unrolled: 1-line block ×3, first 2 shown]
	v_lshrrev_b32_e32 v32, 29, v0
	v_ffbh_u32_e32 v30, v29
	v_min_u32_e32 v30, 32, v30
	v_sub_nc_u32_e32 v26, 31, v30
	v_lshlrev_b32_e32 v33, 23, v30
	v_alignbit_b32 v29, v29, v19, v26
	v_alignbit_b32 v5, v19, v5, v26
	v_lshlrev_b32_e32 v19, 31, v32
	v_alignbit_b32 v26, v29, v5, 9
	v_or_b32_e32 v32, 0.5, v19
	v_lshrrev_b32_e32 v29, 9, v29
	v_or_b32_e32 v19, 0x33000000, v19
	v_ffbh_u32_e32 v36, v26
	v_sub_nc_u32_e32 v32, v32, v33
	v_min_u32_e32 v33, 32, v36
	v_or_b32_e32 v29, v29, v32
	v_not_b32_e32 v32, v33
	v_mul_f32_e32 v36, 0x3fc90fda, v29
	v_add_lshl_u32 v30, v33, v30, 23
	v_alignbit_b32 v5, v26, v5, v32
	v_fma_f32 v26, 0x3fc90fda, v29, -v36
	v_sub_nc_u32_e32 v19, v19, v30
	v_lshrrev_b32_e32 v5, 9, v5
	v_fmac_f32_e32 v26, 0x33a22168, v29
	v_or_b32_e32 v5, v19, v5
	v_fmac_f32_e32 v26, 0x3fc90fda, v5
	v_lshrrev_b32_e32 v5, 30, v0
	v_add_f32_e32 v0, v36, v26
	v_add_nc_u32_e32 v19, v27, v5
.LBB2_111:                              ;   in Loop: Header=BB2_34 Depth=2
	s_or_saveexec_b32 s10, s22
	v_mul_f32_e64 v5, 0x3f22f983, |v11|
	v_rndne_f32_e32 v27, v5
	s_xor_b32 exec_lo, exec_lo, s10
; %bb.112:                              ;   in Loop: Header=BB2_34 Depth=2
	v_fma_f32 v0, 0xbfc90fda, v27, |v11|
	v_cvt_i32_f32_e32 v19, v27
	v_fmac_f32_e32 v0, 0xb3a22168, v27
	v_fmac_f32_e32 v0, 0xa7c234c4, v27
; %bb.113:                              ;   in Loop: Header=BB2_34 Depth=2
	s_or_b32 exec_lo, exec_lo, s10
                                        ; implicit-def: $vgpr5
                                        ; implicit-def: $vgpr26
	s_and_saveexec_b32 s10, s21
	s_xor_b32 s21, exec_lo, s10
	s_cbranch_execz .LBB2_115
; %bb.114:                              ;   in Loop: Header=BB2_34 Depth=2
	v_mad_u64_u32 v[26:27], null, 0xfe5163ab, v20, 0
	v_cmp_lt_u32_e32 vcc_lo, 63, v23
	v_mov_b32_e32 v5, v27
	v_cndmask_b32_e64 v27, 0, 0xffffffc0, vcc_lo
	v_mad_u64_u32 v[29:30], null, 0x3c439041, v20, v[5:6]
	v_add_nc_u32_e32 v23, v27, v23
	v_cmp_lt_u32_e64 s10, 31, v23
	v_mov_b32_e32 v5, v30
	v_cndmask_b32_e64 v27, 0, 0xffffffe0, s10
	v_mad_u64_u32 v[32:33], null, 0xdb629599, v20, v[5:6]
	v_add_nc_u32_e32 v23, v27, v23
	v_mov_b32_e32 v5, v33
	v_cmp_lt_u32_e64 s11, 31, v23
	v_cndmask_b32_e32 v26, v32, v26, vcc_lo
	v_mad_u64_u32 v[36:37], null, 0xf534ddc0, v20, v[5:6]
	v_mov_b32_e32 v5, v37
	v_mad_u64_u32 v[37:38], null, 0xfc2757d1, v20, v[5:6]
	v_mov_b32_e32 v5, v38
	v_cndmask_b32_e32 v33, v37, v32, vcc_lo
	v_mad_u64_u32 v[43:44], null, 0x4e441529, v20, v[5:6]
	v_mov_b32_e32 v5, v44
	v_mad_u64_u32 v[44:45], null, 0xa2f9836e, v20, v[5:6]
	v_cndmask_b32_e64 v5, 0, 0xffffffe0, s11
	v_cndmask_b32_e32 v20, v43, v36, vcc_lo
	v_add_nc_u32_e32 v5, v5, v23
	v_cndmask_b32_e32 v27, v44, v37, vcc_lo
	v_cndmask_b32_e32 v30, v45, v43, vcc_lo
	v_cndmask_b32_e32 v23, v36, v29, vcc_lo
	v_cmp_eq_u32_e32 vcc_lo, 0, v5
	v_cndmask_b32_e64 v29, v27, v20, s10
	v_cndmask_b32_e64 v27, v30, v27, s10
	;; [unrolled: 1-line block ×3, first 2 shown]
	v_sub_nc_u32_e32 v30, 32, v5
	v_cndmask_b32_e64 v33, v33, v23, s10
	v_cndmask_b32_e64 v23, v23, v26, s10
	;; [unrolled: 1-line block ×6, first 2 shown]
	v_alignbit_b32 v36, v27, v29, v30
	v_alignbit_b32 v32, v29, v20, v30
	;; [unrolled: 1-line block ×3, first 2 shown]
	v_cndmask_b32_e32 v5, v36, v27, vcc_lo
	v_cndmask_b32_e32 v26, v32, v29, vcc_lo
	;; [unrolled: 1-line block ×3, first 2 shown]
	v_bfe_u32 v27, v5, 29, 1
	v_alignbit_b32 v29, v5, v26, 30
	v_alignbit_b32 v26, v26, v20, 30
	;; [unrolled: 1-line block ×3, first 2 shown]
	v_sub_nc_u32_e32 v32, 0, v27
	v_xor_b32_e32 v29, v29, v32
	v_xor_b32_e32 v23, v26, v32
	;; [unrolled: 1-line block ×3, first 2 shown]
	v_lshrrev_b32_e32 v32, 29, v5
	v_lshrrev_b32_e32 v5, 30, v5
	v_ffbh_u32_e32 v30, v29
	v_add_nc_u32_e32 v5, v27, v5
	v_min_u32_e32 v30, 32, v30
                                        ; implicit-def: $vgpr27
	v_sub_nc_u32_e32 v26, 31, v30
	v_lshlrev_b32_e32 v33, 23, v30
	v_alignbit_b32 v29, v29, v23, v26
	v_alignbit_b32 v20, v23, v20, v26
	v_lshlrev_b32_e32 v23, 31, v32
	v_alignbit_b32 v26, v29, v20, 9
	v_or_b32_e32 v32, 0.5, v23
	v_lshrrev_b32_e32 v29, 9, v29
	v_or_b32_e32 v23, 0x33000000, v23
	v_ffbh_u32_e32 v36, v26
	v_sub_nc_u32_e32 v32, v32, v33
	v_min_u32_e32 v33, 32, v36
	v_or_b32_e32 v29, v29, v32
	v_not_b32_e32 v32, v33
	v_mul_f32_e32 v36, 0x3fc90fda, v29
	v_add_lshl_u32 v30, v33, v30, 23
	v_alignbit_b32 v20, v26, v20, v32
	v_fma_f32 v26, 0x3fc90fda, v29, -v36
	v_sub_nc_u32_e32 v23, v23, v30
	v_lshrrev_b32_e32 v20, 9, v20
	v_fmac_f32_e32 v26, 0x33a22168, v29
	v_or_b32_e32 v20, v23, v20
	v_fmac_f32_e32 v26, 0x3fc90fda, v20
	v_add_f32_e32 v26, v36, v26
	s_andn2_saveexec_b32 s10, s21
	s_cbranch_execnz .LBB2_116
	s_branch .LBB2_117
.LBB2_115:                              ;   in Loop: Header=BB2_34 Depth=2
	s_andn2_saveexec_b32 s10, s21
.LBB2_116:                              ;   in Loop: Header=BB2_34 Depth=2
	v_fma_f32 v26, 0xbfc90fda, v27, |v11|
	v_cvt_i32_f32_e32 v5, v27
	v_fmac_f32_e32 v26, 0xb3a22168, v27
	v_fmac_f32_e32 v26, 0xa7c234c4, v27
.LBB2_117:                              ;   in Loop: Header=BB2_34 Depth=2
	s_or_b32 exec_lo, exec_lo, s10
	v_mul_f32_e32 v20, v0, v0
	v_fmaak_f32 v23, s49, v20, 0x3c0881c4
	v_fmaak_f32 v23, v20, v23, 0xbe2aaa9d
	v_mul_f32_e32 v23, v20, v23
	v_fmac_f32_e32 v0, v0, v23
	v_fmaak_f32 v23, s50, v20, 0xbab64f3b
	v_fmaak_f32 v23, v20, v23, 0x3d2aabf7
	;; [unrolled: 1-line block ×3, first 2 shown]
	v_fma_f32 v20, v20, v23, 1.0
	v_and_b32_e32 v23, 1, v19
	v_lshlrev_b32_e32 v19, 30, v19
	v_cmp_eq_u32_e32 vcc_lo, 0, v23
	v_and_b32_e32 v19, 0x80000000, v19
	v_cndmask_b32_e64 v0, -v0, v20, vcc_lo
	v_cmp_class_f32_e64 vcc_lo, v11, 0x1f8
	v_xor_b32_e32 v11, v12, v11
	v_xor_b32_e32 v0, v19, v0
	v_mul_f32_e32 v19, v26, v26
	v_cndmask_b32_e32 v0, 0x7fc00000, v0, vcc_lo
	v_fmaak_f32 v20, s49, v19, 0x3c0881c4
	s_waitcnt vmcnt(0)
	v_mul_f32_e32 v0, v3, v0
	v_fmaak_f32 v20, v19, v20, 0xbe2aaa9d
	v_mul_f32_e32 v20, v19, v20
	v_fmac_f32_e32 v26, v26, v20
	v_fmaak_f32 v20, s50, v19, 0xbab64f3b
	v_fmaak_f32 v20, v19, v20, 0x3d2aabf7
	;; [unrolled: 1-line block ×3, first 2 shown]
	v_fma_f32 v19, v19, v20, 1.0
	v_and_b32_e32 v20, 1, v5
	v_lshlrev_b32_e32 v5, 30, v5
	v_cmp_eq_u32_e64 s10, 0, v20
	v_and_b32_e32 v5, 0x80000000, v5
	v_cndmask_b32_e64 v19, v19, v26, s10
	v_xor3_b32 v5, v11, v5, v19
	v_cndmask_b32_e32 v5, 0x7fc00000, v5, vcc_lo
	v_mul_f32_e32 v3, v3, v5
.LBB2_118:                              ;   in Loop: Header=BB2_34 Depth=2
	s_or_b32 exec_lo, exec_lo, s19
.LBB2_119:                              ;   in Loop: Header=BB2_34 Depth=2
	s_or_b32 exec_lo, exec_lo, s17
.LBB2_120:                              ;   in Loop: Header=BB2_34 Depth=2
	s_or_b32 exec_lo, exec_lo, s16
.LBB2_121:                              ;   in Loop: Header=BB2_34 Depth=2
	s_or_b32 exec_lo, exec_lo, s15
                                        ; implicit-def: $vgpr11
.LBB2_122:                              ;   in Loop: Header=BB2_34 Depth=2
	s_andn2_saveexec_b32 s14, s14
	s_cbranch_execz .LBB2_180
; %bb.123:                              ;   in Loop: Header=BB2_34 Depth=2
	s_mov_b32 s10, exec_lo
	v_cmpx_lt_i32_e32 21, v11
	s_xor_b32 s15, exec_lo, s10
	s_cbranch_execz .LBB2_161
; %bb.124:                              ;   in Loop: Header=BB2_34 Depth=2
	s_mov_b32 s10, exec_lo
	v_cmpx_lt_i32_e32 27, v11
	s_xor_b32 s16, exec_lo, s10
	;; [unrolled: 5-line block ×4, first 2 shown]
	s_cbranch_execz .LBB2_138
; %bb.127:                              ;   in Loop: Header=BB2_34 Depth=2
	s_mov_b32 s21, exec_lo
	v_cmpx_eq_u32_e32 31, v11
	s_cbranch_execz .LBB2_137
; %bb.128:                              ;   in Loop: Header=BB2_34 Depth=2
	global_load_dword v5, v[9:10], off
	s_clause 0x1
	buffer_load_dword v11, off, s[56:59], 0 offset:40
	buffer_load_dword v12, off, s[56:59], 0 offset:44
                                        ; implicit-def: $vgpr23
                                        ; implicit-def: $vgpr20
	s_waitcnt vmcnt(2)
	v_add_f32_e32 v5, v5, v5
	s_waitcnt vmcnt(0)
	global_load_dword v19, v[11:12], off
	v_mul_f32_e32 v11, 0x40490fdb, v5
	v_and_b32_e32 v12, 0x7fffffff, v11
	v_cmp_ngt_f32_e64 s22, 0x48000000, |v11|
	v_lshrrev_b32_e32 v5, 23, v12
	v_and_or_b32 v26, v12, s47, 0x800000
	v_add_nc_u32_e32 v27, 0xffffff88, v5
	s_and_saveexec_b32 s10, s22
	s_xor_b32 s23, exec_lo, s10
	s_cbranch_execz .LBB2_130
; %bb.129:                              ;   in Loop: Header=BB2_34 Depth=2
	v_mad_u64_u32 v[29:30], null, 0xfe5163ab, v26, 0
	v_cmp_lt_u32_e32 vcc_lo, 63, v27
	v_cndmask_b32_e64 v20, 0, 0xffffffc0, vcc_lo
	v_mov_b32_e32 v5, v30
	v_add_nc_u32_e32 v20, v20, v27
	v_mad_u64_u32 v[32:33], null, 0x3c439041, v26, v[5:6]
	v_cmp_lt_u32_e64 s10, 31, v20
	v_mov_b32_e32 v5, v33
	v_cndmask_b32_e64 v23, 0, 0xffffffe0, s10
	v_mad_u64_u32 v[36:37], null, 0xdb629599, v26, v[5:6]
	v_add_nc_u32_e32 v20, v23, v20
	v_cmp_lt_u32_e64 s11, 31, v20
	v_mov_b32_e32 v5, v37
	v_cndmask_b32_e32 v29, v36, v29, vcc_lo
	v_mad_u64_u32 v[37:38], null, 0xf534ddc0, v26, v[5:6]
	v_mov_b32_e32 v5, v38
	v_mad_u64_u32 v[43:44], null, 0xfc2757d1, v26, v[5:6]
	v_mov_b32_e32 v5, v44
	v_cndmask_b32_e32 v38, v43, v36, vcc_lo
	v_mad_u64_u32 v[44:45], null, 0x4e441529, v26, v[5:6]
	v_mov_b32_e32 v5, v45
	v_cndmask_b32_e32 v23, v44, v37, vcc_lo
	v_mad_u64_u32 v[118:119], null, 0xa2f9836e, v26, v[5:6]
	v_cndmask_b32_e64 v5, 0, 0xffffffe0, s11
	v_add_nc_u32_e32 v5, v5, v20
	v_cndmask_b32_e32 v30, v118, v43, vcc_lo
	v_cndmask_b32_e32 v33, v119, v44, vcc_lo
	;; [unrolled: 1-line block ×3, first 2 shown]
	v_cmp_eq_u32_e32 vcc_lo, 0, v5
	v_cndmask_b32_e64 v32, v30, v23, s10
	v_cndmask_b32_e64 v30, v33, v30, s10
	;; [unrolled: 1-line block ×3, first 2 shown]
	v_sub_nc_u32_e32 v33, 32, v5
	v_cndmask_b32_e64 v37, v38, v20, s10
	v_cndmask_b32_e64 v20, v20, v29, s10
	;; [unrolled: 1-line block ×6, first 2 shown]
	v_alignbit_b32 v38, v30, v32, v33
	v_alignbit_b32 v36, v32, v23, v33
	;; [unrolled: 1-line block ×3, first 2 shown]
	v_cndmask_b32_e32 v5, v38, v30, vcc_lo
	v_cndmask_b32_e32 v29, v36, v32, vcc_lo
	;; [unrolled: 1-line block ×3, first 2 shown]
	v_bfe_u32 v30, v5, 29, 1
	v_alignbit_b32 v32, v5, v29, 30
	v_alignbit_b32 v29, v29, v23, 30
	;; [unrolled: 1-line block ×3, first 2 shown]
	v_sub_nc_u32_e32 v36, 0, v30
	v_xor_b32_e32 v32, v32, v36
	v_xor_b32_e32 v23, v29, v36
	;; [unrolled: 1-line block ×3, first 2 shown]
	v_lshrrev_b32_e32 v36, 29, v5
	v_lshrrev_b32_e32 v5, 30, v5
	v_ffbh_u32_e32 v33, v32
	v_min_u32_e32 v33, 32, v33
	v_sub_nc_u32_e32 v29, 31, v33
	v_lshlrev_b32_e32 v37, 23, v33
	v_alignbit_b32 v32, v32, v23, v29
	v_alignbit_b32 v20, v23, v20, v29
	v_lshlrev_b32_e32 v23, 31, v36
	v_alignbit_b32 v29, v32, v20, 9
	v_or_b32_e32 v36, 0.5, v23
	v_lshrrev_b32_e32 v32, 9, v32
	v_or_b32_e32 v23, 0x33000000, v23
	v_ffbh_u32_e32 v38, v29
	v_sub_nc_u32_e32 v36, v36, v37
	v_min_u32_e32 v37, 32, v38
	v_or_b32_e32 v32, v32, v36
	v_not_b32_e32 v36, v37
	v_mul_f32_e32 v38, 0x3fc90fda, v32
	v_add_lshl_u32 v33, v37, v33, 23
	v_alignbit_b32 v20, v29, v20, v36
	v_fma_f32 v29, 0x3fc90fda, v32, -v38
	v_sub_nc_u32_e32 v23, v23, v33
	v_lshrrev_b32_e32 v20, 9, v20
	v_fmac_f32_e32 v29, 0x33a22168, v32
	v_or_b32_e32 v20, v23, v20
	v_add_nc_u32_e32 v23, v30, v5
	v_fmac_f32_e32 v29, 0x3fc90fda, v20
	v_add_f32_e32 v20, v38, v29
.LBB2_130:                              ;   in Loop: Header=BB2_34 Depth=2
	s_or_saveexec_b32 s10, s23
	v_mul_f32_e64 v5, 0x3f22f983, |v11|
	v_rndne_f32_e32 v33, v5
	s_xor_b32 exec_lo, exec_lo, s10
; %bb.131:                              ;   in Loop: Header=BB2_34 Depth=2
	v_fma_f32 v20, 0xbfc90fda, v33, |v11|
	v_cvt_i32_f32_e32 v23, v33
	v_fmac_f32_e32 v20, 0xb3a22168, v33
	v_fmac_f32_e32 v20, 0xa7c234c4, v33
; %bb.132:                              ;   in Loop: Header=BB2_34 Depth=2
	s_or_b32 exec_lo, exec_lo, s10
                                        ; implicit-def: $vgpr5
                                        ; implicit-def: $vgpr32
	s_and_saveexec_b32 s10, s22
	s_xor_b32 s22, exec_lo, s10
	s_cbranch_execz .LBB2_134
; %bb.133:                              ;   in Loop: Header=BB2_34 Depth=2
	v_mad_u64_u32 v[29:30], null, 0xfe5163ab, v26, 0
	v_cmp_lt_u32_e32 vcc_lo, 63, v27
	v_mov_b32_e32 v5, v30
	v_cndmask_b32_e64 v30, 0, 0xffffffc0, vcc_lo
	v_mad_u64_u32 v[32:33], null, 0x3c439041, v26, v[5:6]
	v_add_nc_u32_e32 v27, v30, v27
	v_cmp_lt_u32_e64 s10, 31, v27
	v_mov_b32_e32 v5, v33
	v_cndmask_b32_e64 v30, 0, 0xffffffe0, s10
	v_mad_u64_u32 v[36:37], null, 0xdb629599, v26, v[5:6]
	v_add_nc_u32_e32 v30, v30, v27
	v_mov_b32_e32 v5, v37
	v_cmp_lt_u32_e64 s11, 31, v30
	v_cndmask_b32_e32 v29, v36, v29, vcc_lo
	v_mad_u64_u32 v[37:38], null, 0xf534ddc0, v26, v[5:6]
	v_mov_b32_e32 v5, v38
	v_mad_u64_u32 v[43:44], null, 0xfc2757d1, v26, v[5:6]
	v_mov_b32_e32 v5, v44
	v_cndmask_b32_e32 v38, v43, v36, vcc_lo
	v_mad_u64_u32 v[44:45], null, 0x4e441529, v26, v[5:6]
	v_mov_b32_e32 v5, v45
	v_cndmask_b32_e32 v33, v44, v37, vcc_lo
	v_mad_u64_u32 v[26:27], null, 0xa2f9836e, v26, v[5:6]
	v_cndmask_b32_e64 v5, 0, 0xffffffe0, s11
	v_add_nc_u32_e32 v5, v5, v30
	v_cndmask_b32_e32 v26, v26, v43, vcc_lo
	v_cndmask_b32_e32 v27, v27, v44, vcc_lo
	;; [unrolled: 1-line block ×3, first 2 shown]
	v_cmp_eq_u32_e32 vcc_lo, 0, v5
	v_cndmask_b32_e64 v32, v26, v33, s10
	v_cndmask_b32_e64 v26, v27, v26, s10
	;; [unrolled: 1-line block ×3, first 2 shown]
	v_sub_nc_u32_e32 v33, 32, v5
	v_cndmask_b32_e64 v37, v38, v30, s10
	v_cndmask_b32_e64 v26, v26, v32, s11
	;; [unrolled: 1-line block ×4, first 2 shown]
	v_alignbit_b32 v38, v26, v32, v33
	v_alignbit_b32 v36, v32, v27, v33
	v_cndmask_b32_e32 v5, v38, v26, vcc_lo
	v_cndmask_b32_e64 v26, v30, v29, s10
	v_cndmask_b32_e32 v29, v36, v32, vcc_lo
	v_bfe_u32 v30, v5, 29, 1
	v_cndmask_b32_e64 v26, v37, v26, s11
	v_alignbit_b32 v32, v5, v29, 30
	v_sub_nc_u32_e32 v36, 0, v30
	v_alignbit_b32 v33, v27, v26, v33
	v_xor_b32_e32 v32, v32, v36
	v_cndmask_b32_e32 v27, v33, v27, vcc_lo
	v_ffbh_u32_e32 v33, v32
	v_alignbit_b32 v29, v29, v27, 30
	v_alignbit_b32 v26, v27, v26, 30
	v_min_u32_e32 v33, 32, v33
	v_xor_b32_e32 v27, v29, v36
	v_xor_b32_e32 v26, v26, v36
	v_lshrrev_b32_e32 v36, 29, v5
	v_lshrrev_b32_e32 v5, 30, v5
	v_sub_nc_u32_e32 v29, 31, v33
	v_lshlrev_b32_e32 v37, 23, v33
	v_add_nc_u32_e32 v5, v30, v5
	v_alignbit_b32 v32, v32, v27, v29
	v_alignbit_b32 v26, v27, v26, v29
	v_lshlrev_b32_e32 v27, 31, v36
	v_alignbit_b32 v29, v32, v26, 9
	v_or_b32_e32 v36, 0.5, v27
	v_lshrrev_b32_e32 v32, 9, v32
	v_or_b32_e32 v27, 0x33000000, v27
	v_ffbh_u32_e32 v38, v29
	v_sub_nc_u32_e32 v36, v36, v37
	v_min_u32_e32 v37, 32, v38
	v_or_b32_e32 v32, v32, v36
	v_not_b32_e32 v36, v37
	v_mul_f32_e32 v38, 0x3fc90fda, v32
	v_add_lshl_u32 v33, v37, v33, 23
	v_alignbit_b32 v26, v29, v26, v36
	v_fma_f32 v29, 0x3fc90fda, v32, -v38
	v_sub_nc_u32_e32 v27, v27, v33
                                        ; implicit-def: $vgpr33
	v_lshrrev_b32_e32 v26, 9, v26
	v_fmac_f32_e32 v29, 0x33a22168, v32
	v_or_b32_e32 v26, v27, v26
	v_fmac_f32_e32 v29, 0x3fc90fda, v26
	v_add_f32_e32 v32, v38, v29
	s_andn2_saveexec_b32 s10, s22
	s_cbranch_execnz .LBB2_135
	s_branch .LBB2_136
.LBB2_134:                              ;   in Loop: Header=BB2_34 Depth=2
	s_andn2_saveexec_b32 s10, s22
.LBB2_135:                              ;   in Loop: Header=BB2_34 Depth=2
	v_fma_f32 v32, 0xbfc90fda, v33, |v11|
	v_cvt_i32_f32_e32 v5, v33
	v_fmac_f32_e32 v32, 0xb3a22168, v33
	v_fmac_f32_e32 v32, 0xa7c234c4, v33
.LBB2_136:                              ;   in Loop: Header=BB2_34 Depth=2
	s_or_b32 exec_lo, exec_lo, s10
	v_mul_f32_e32 v26, v20, v20
	s_waitcnt vmcnt(0)
	v_mul_f32_e32 v0, v0, v19
	v_mul_f32_e32 v3, v3, v19
	;; [unrolled: 1-line block ×3, first 2 shown]
	v_fmaak_f32 v27, s49, v26, 0x3c0881c4
	v_fmaak_f32 v27, v26, v27, 0xbe2aaa9d
	v_mul_f32_e32 v27, v26, v27
	v_fmac_f32_e32 v20, v20, v27
	v_fmaak_f32 v27, s50, v26, 0xbab64f3b
	v_fmaak_f32 v27, v26, v27, 0x3d2aabf7
	v_fmaak_f32 v27, v26, v27, 0xbf000004
	v_fma_f32 v26, v26, v27, 1.0
	v_and_b32_e32 v27, 1, v23
	v_lshlrev_b32_e32 v23, 30, v23
	v_cmp_eq_u32_e32 vcc_lo, 0, v27
	v_and_b32_e32 v23, 0x80000000, v23
	v_cndmask_b32_e64 v20, -v20, v26, vcc_lo
	v_cmp_class_f32_e64 vcc_lo, v11, 0x1f8
	v_xor_b32_e32 v11, v12, v11
	v_xor_b32_e32 v20, v23, v20
	v_cndmask_b32_e32 v20, 0x7fc00000, v20, vcc_lo
	v_mul_f32_e32 v0, v0, v20
	v_fmaak_f32 v20, s49, v19, 0x3c0881c4
	v_fmaak_f32 v20, v19, v20, 0xbe2aaa9d
	v_mul_f32_e32 v20, v19, v20
	v_fmac_f32_e32 v32, v32, v20
	v_fmaak_f32 v20, s50, v19, 0xbab64f3b
	v_fmaak_f32 v20, v19, v20, 0x3d2aabf7
	;; [unrolled: 1-line block ×3, first 2 shown]
	v_fma_f32 v19, v19, v20, 1.0
	v_and_b32_e32 v20, 1, v5
	v_lshlrev_b32_e32 v5, 30, v5
	v_cmp_eq_u32_e64 s10, 0, v20
	v_and_b32_e32 v5, 0x80000000, v5
	v_cndmask_b32_e64 v19, v19, v32, s10
	v_xor3_b32 v5, v11, v5, v19
	v_cndmask_b32_e32 v5, 0x7fc00000, v5, vcc_lo
	v_mul_f32_e32 v3, v3, v5
.LBB2_137:                              ;   in Loop: Header=BB2_34 Depth=2
	s_or_b32 exec_lo, exec_lo, s21
                                        ; implicit-def: $vgpr11
.LBB2_138:                              ;   in Loop: Header=BB2_34 Depth=2
	s_andn2_saveexec_b32 s10, s19
	s_cbranch_execz .LBB2_142
; %bb.139:                              ;   in Loop: Header=BB2_34 Depth=2
	s_mov_b32 s11, exec_lo
	v_cmpx_eq_u32_e32 29, v11
	s_cbranch_execz .LBB2_141
; %bb.140:                              ;   in Loop: Header=BB2_34 Depth=2
	s_waitcnt vmcnt(1)
	v_mov_b32_e32 v3, v21
	s_waitcnt vmcnt(0)
	v_mov_b32_e32 v0, v60
.LBB2_141:                              ;   in Loop: Header=BB2_34 Depth=2
	s_or_b32 exec_lo, exec_lo, s11
.LBB2_142:                              ;   in Loop: Header=BB2_34 Depth=2
	s_or_b32 exec_lo, exec_lo, s10
.LBB2_143:                              ;   in Loop: Header=BB2_34 Depth=2
	s_andn2_saveexec_b32 s10, s17
	s_cbranch_execz .LBB2_145
; %bb.144:                              ;   in Loop: Header=BB2_34 Depth=2
	s_waitcnt vmcnt(1)
	v_mov_b32_e32 v3, v47
	s_waitcnt vmcnt(0)
	v_mov_b32_e32 v0, v46
.LBB2_145:                              ;   in Loop: Header=BB2_34 Depth=2
	s_or_b32 exec_lo, exec_lo, s10
                                        ; implicit-def: $vgpr11
.LBB2_146:                              ;   in Loop: Header=BB2_34 Depth=2
	s_andn2_saveexec_b32 s11, s16
	s_cbranch_execz .LBB2_160
; %bb.147:                              ;   in Loop: Header=BB2_34 Depth=2
	s_mov_b32 s10, exec_lo
	v_cmpx_lt_i32_e32 26, v11
	s_xor_b32 s10, exec_lo, s10
; %bb.148:                              ;   in Loop: Header=BB2_34 Depth=2
                                        ; implicit-def: $vgpr3
                                        ; implicit-def: $vgpr0
                                        ; implicit-def: $vgpr11
; %bb.149:                              ;   in Loop: Header=BB2_34 Depth=2
	s_or_saveexec_b32 s16, s10
	v_mov_b32_e32 v5, v49
	v_mov_b32_e32 v12, v48
	s_xor_b32 exec_lo, exec_lo, s16
	s_cbranch_execz .LBB2_159
; %bb.150:                              ;   in Loop: Header=BB2_34 Depth=2
	s_mov_b32 s17, exec_lo
	v_cmpx_eq_u32_e32 22, v11
	s_cbranch_execz .LBB2_158
; %bb.151:                              ;   in Loop: Header=BB2_34 Depth=2
	s_waitcnt vmcnt(0)
	v_mov_b32_e32 v0, v88
	s_and_saveexec_b32 s10, s18
	s_cbranch_execz .LBB2_157
; %bb.152:                              ;   in Loop: Header=BB2_34 Depth=2
	v_mov_b32_e32 v3, v89
	v_mov_b32_e32 v0, v90
	s_mov_b32 s19, exec_lo
	v_rcp_f32_e32 v11, v34
	s_and_b32 s21, s19, s4
	s_mov_b32 exec_lo, s21
	s_cbranch_execz .LBB2_156
; %bb.153:                              ;   in Loop: Header=BB2_34 Depth=2
	v_mov_b32_e32 v3, v89
	v_mov_b32_e32 v0, v90
	s_mov_b32 s21, 0
.LBB2_154:                              ;   Parent Loop BB2_2 Depth=1
                                        ;     Parent Loop BB2_34 Depth=2
                                        ; =>    This Inner Loop Header: Depth=3
	v_mul_f32_e32 v5, v11, v3
	v_rndne_f32_e32 v5, v5
	v_fma_f32 v3, -v5, v34, v3
	v_add_f32_e32 v5, v34, v3
	v_cmp_gt_f32_e32 vcc_lo, 0, v3
	v_cndmask_b32_e32 v3, v3, v5, vcc_lo
	v_cmp_gt_u32_e32 vcc_lo, 25, v0
	v_add_nc_u32_e32 v0, -12, v0
	v_ldexp_f32 v3, v3, 12
	s_or_b32 s21, vcc_lo, s21
	s_andn2_b32 exec_lo, exec_lo, s21
	s_cbranch_execnz .LBB2_154
; %bb.155:                              ;   in Loop: Header=BB2_34 Depth=2
	s_or_b32 exec_lo, exec_lo, s21
.LBB2_156:                              ;   in Loop: Header=BB2_34 Depth=2
	s_or_b32 exec_lo, exec_lo, s19
	v_add_nc_u32_e32 v0, -11, v0
	v_ldexp_f32 v0, v3, v0
	v_mul_f32_e32 v3, v11, v0
	v_rndne_f32_e32 v3, v3
	v_fma_f32 v0, -v3, v34, v0
	v_add_f32_e32 v3, v34, v0
	v_cmp_gt_f32_e32 vcc_lo, 0, v0
	v_cndmask_b32_e32 v0, v0, v3, vcc_lo
	buffer_load_dword v3, off, s[56:59], 0 offset:4 ; 4-byte Folded Reload
	s_waitcnt vmcnt(0)
	v_add_nc_u32_e32 v3, -1, v3
	v_ldexp_f32 v0, v0, v3
	v_xor_b32_e32 v0, v91, v0
.LBB2_157:                              ;   in Loop: Header=BB2_34 Depth=2
	s_or_b32 exec_lo, exec_lo, s10
	v_cndmask_b32_e64 v0, v0, 0x7fc00000, s0
	v_mul_f32_e32 v3, 0.5, v24
	v_cndmask_b32_e64 v0, 0x7fc00000, v0, s5
	v_cmp_gt_f32_e32 vcc_lo, v0, v3
	v_cndmask_b32_e64 v0, 0, 1, s7
	v_cndmask_b32_e64 v3, 0, 1, s6
	v_cndmask_b32_e32 v5, v105, v110, vcc_lo
	v_cndmask_b32_e32 v11, v106, v111, vcc_lo
	v_cndmask_b32_e32 v12, v92, v94, vcc_lo
	v_cndmask_b32_e32 v0, v3, v0, vcc_lo
	v_cndmask_b32_e32 v3, v104, v109, vcc_lo
	v_cmp_eq_u32_e64 s10, 0, v5
	v_cndmask_b32_e32 v5, v103, v108, vcc_lo
	v_xor_b32_e32 v11, v11, v12
	v_cndmask_b32_e32 v12, v93, v95, vcc_lo
	v_and_b32_e32 v0, 1, v0
	v_cndmask_b32_e64 v3, v3, v5, s10
	v_cndmask_b32_e32 v5, v107, v112, vcc_lo
	v_cmp_eq_u32_e64 s10, 1, v0
	v_xor3_b32 v0, v11, v12, v3
	v_cndmask_b32_e64 v0, 0x7fc00000, v0, s10
	v_mul_f32_e32 v3, v42, v0
	v_mul_f32_e32 v0, v42, v5
.LBB2_158:                              ;   in Loop: Header=BB2_34 Depth=2
	s_or_b32 exec_lo, exec_lo, s17
	s_waitcnt vmcnt(1)
	v_mov_b32_e32 v5, v3
	s_waitcnt vmcnt(0)
	v_mov_b32_e32 v12, v0
.LBB2_159:                              ;   in Loop: Header=BB2_34 Depth=2
	s_or_b32 exec_lo, exec_lo, s16
	s_waitcnt vmcnt(1)
	v_mov_b32_e32 v3, v5
	s_waitcnt vmcnt(0)
	v_mov_b32_e32 v0, v12
.LBB2_160:                              ;   in Loop: Header=BB2_34 Depth=2
	s_or_b32 exec_lo, exec_lo, s11
                                        ; implicit-def: $vgpr11
.LBB2_161:                              ;   in Loop: Header=BB2_34 Depth=2
	s_andn2_saveexec_b32 s10, s15
	s_cbranch_execz .LBB2_179
; %bb.162:                              ;   in Loop: Header=BB2_34 Depth=2
	s_mov_b32 s11, exec_lo
                                        ; implicit-def: $vgpr3
                                        ; implicit-def: $vgpr0
	v_cmpx_lt_i32_e32 19, v11
	s_xor_b32 s11, exec_lo, s11
	s_cbranch_execz .LBB2_174
; %bb.163:                              ;   in Loop: Header=BB2_34 Depth=2
	s_mov_b32 s15, exec_lo
                                        ; implicit-def: $vgpr3
                                        ; implicit-def: $vgpr0
	v_cmpx_lt_i32_e32 20, v11
	s_xor_b32 s15, exec_lo, s15
	s_cbranch_execz .LBB2_171
; %bb.164:                              ;   in Loop: Header=BB2_34 Depth=2
	s_waitcnt vmcnt(0)
	v_mov_b32_e32 v0, v96
	s_and_saveexec_b32 s16, s20
	s_cbranch_execz .LBB2_170
; %bb.165:                              ;   in Loop: Header=BB2_34 Depth=2
	v_mov_b32_e32 v3, v97
	v_mov_b32_e32 v0, v98
	s_and_saveexec_b32 s17, s8
	s_cbranch_execz .LBB2_169
; %bb.166:                              ;   in Loop: Header=BB2_34 Depth=2
	v_mov_b32_e32 v3, v97
	v_mov_b32_e32 v0, v98
	s_mov_b32 s19, 0
.LBB2_167:                              ;   Parent Loop BB2_2 Depth=1
                                        ;     Parent Loop BB2_34 Depth=2
                                        ; =>    This Inner Loop Header: Depth=3
	v_mul_f32_e32 v5, v39, v3
	v_rndne_f32_e32 v5, v5
	v_fma_f32 v3, -v5, v35, v3
	v_add_f32_e32 v5, v35, v3
	v_cmp_gt_f32_e32 vcc_lo, 0, v3
	v_cndmask_b32_e32 v3, v3, v5, vcc_lo
	v_cmp_gt_u32_e32 vcc_lo, 25, v0
	v_add_nc_u32_e32 v0, -12, v0
	v_ldexp_f32 v3, v3, 12
	s_or_b32 s19, vcc_lo, s19
	s_andn2_b32 exec_lo, exec_lo, s19
	s_cbranch_execnz .LBB2_167
; %bb.168:                              ;   in Loop: Header=BB2_34 Depth=2
	s_or_b32 exec_lo, exec_lo, s19
.LBB2_169:                              ;   in Loop: Header=BB2_34 Depth=2
	s_or_b32 exec_lo, exec_lo, s17
	v_add_nc_u32_e32 v0, -11, v0
	v_ldexp_f32 v0, v3, v0
	v_mul_f32_e32 v3, v39, v0
	v_rndne_f32_e32 v3, v3
	v_fma_f32 v0, -v3, v35, v0
	v_add_f32_e32 v3, v35, v0
	v_cmp_gt_f32_e32 vcc_lo, 0, v0
	v_cndmask_b32_e32 v0, v0, v3, vcc_lo
	buffer_load_dword v3, off, s[56:59], 0  ; 4-byte Folded Reload
	s_waitcnt vmcnt(0)
	v_add_nc_u32_e32 v3, -1, v3
	v_ldexp_f32 v0, v0, v3
	v_xor_b32_e32 v0, v99, v0
.LBB2_170:                              ;   in Loop: Header=BB2_34 Depth=2
	s_or_b32 exec_lo, exec_lo, s16
	v_cndmask_b32_e64 v0, v0, 0x7fc00000, s2
	v_cndmask_b32_e64 v0, 0x7fc00000, v0, s9
	v_sub_f32_e32 v0, v0, v28
	v_add_f32_e32 v3, v100, v0
	v_mul_f32_e32 v0, v65, v3
	v_mul_f32_e32 v3, v66, v3
.LBB2_171:                              ;   in Loop: Header=BB2_34 Depth=2
	s_andn2_saveexec_b32 s15, s15
	s_cbranch_execz .LBB2_173
; %bb.172:                              ;   in Loop: Header=BB2_34 Depth=2
	s_waitcnt vmcnt(1)
	v_mov_b32_e32 v3, v68
	s_waitcnt vmcnt(0)
	v_mov_b32_e32 v0, v67
.LBB2_173:                              ;   in Loop: Header=BB2_34 Depth=2
	s_or_b32 exec_lo, exec_lo, s15
                                        ; implicit-def: $vgpr11
.LBB2_174:                              ;   in Loop: Header=BB2_34 Depth=2
	s_andn2_saveexec_b32 s11, s11
	s_cbranch_execz .LBB2_178
; %bb.175:                              ;   in Loop: Header=BB2_34 Depth=2
	s_mov_b32 s15, exec_lo
	v_cmpx_lt_i32_e32 18, v11
	s_xor_b32 s15, exec_lo, s15
	s_or_saveexec_b32 s15, s15
	s_waitcnt vmcnt(1)
	v_mov_b32_e32 v3, v70
	s_waitcnt vmcnt(0)
	v_mov_b32_e32 v0, v69
	s_xor_b32 exec_lo, exec_lo, s15
; %bb.176:                              ;   in Loop: Header=BB2_34 Depth=2
	v_mov_b32_e32 v3, v72
	v_mov_b32_e32 v0, v71
; %bb.177:                              ;   in Loop: Header=BB2_34 Depth=2
	s_or_b32 exec_lo, exec_lo, s15
.LBB2_178:                              ;   in Loop: Header=BB2_34 Depth=2
	s_or_b32 exec_lo, exec_lo, s11
.LBB2_179:                              ;   in Loop: Header=BB2_34 Depth=2
	s_or_b32 exec_lo, exec_lo, s10
.LBB2_180:                              ;   in Loop: Header=BB2_34 Depth=2
	s_or_b32 exec_lo, exec_lo, s14
                                        ; implicit-def: $vgpr11
.LBB2_181:                              ;   in Loop: Header=BB2_34 Depth=2
	s_andn2_saveexec_b32 s13, s13
	s_cbranch_execz .LBB2_32
; %bb.182:                              ;   in Loop: Header=BB2_34 Depth=2
                                        ; implicit-def: $vgpr12
                                        ; implicit-def: $vgpr5
	s_mov_b32 s10, exec_lo
	v_cmpx_lt_i32_e32 8, v11
	s_xor_b32 s14, exec_lo, s10
	s_cbranch_execz .LBB2_226
; %bb.183:                              ;   in Loop: Header=BB2_34 Depth=2
                                        ; implicit-def: $vgpr12
                                        ; implicit-def: $vgpr5
	s_mov_b32 s10, exec_lo
	v_cmpx_lt_i32_e32 12, v11
	s_xor_b32 s15, exec_lo, s10
	s_cbranch_execz .LBB2_215
; %bb.184:                              ;   in Loop: Header=BB2_34 Depth=2
	s_mov_b32 s10, exec_lo
                                        ; implicit-def: $vgpr12
                                        ; implicit-def: $vgpr5
	v_cmpx_lt_i32_e32 14, v11
	s_xor_b32 s10, exec_lo, s10
	s_cbranch_execz .LBB2_192
; %bb.185:                              ;   in Loop: Header=BB2_34 Depth=2
	s_mov_b32 s11, exec_lo
                                        ; implicit-def: $vgpr12
                                        ; implicit-def: $vgpr5
	v_cmpx_lt_i32_e32 15, v11
	s_xor_b32 s11, exec_lo, s11
	s_cbranch_execz .LBB2_189
; %bb.186:                              ;   in Loop: Header=BB2_34 Depth=2
	s_mov_b32 s16, exec_lo
	v_cmpx_lt_i32_e32 16, v11
	s_xor_b32 s16, exec_lo, s16
	s_or_saveexec_b32 s16, s16
	v_mov_b32_e32 v12, v102
	v_mov_b32_e32 v5, v101
	s_xor_b32 exec_lo, exec_lo, s16
; %bb.187:                              ;   in Loop: Header=BB2_34 Depth=2
	v_mov_b32_e32 v12, v48
	v_mov_b32_e32 v5, v49
; %bb.188:                              ;   in Loop: Header=BB2_34 Depth=2
	s_or_b32 exec_lo, exec_lo, s16
.LBB2_189:                              ;   in Loop: Header=BB2_34 Depth=2
	s_andn2_saveexec_b32 s11, s11
; %bb.190:                              ;   in Loop: Header=BB2_34 Depth=2
	v_mov_b32_e32 v12, v116
	v_mov_b32_e32 v5, v113
; %bb.191:                              ;   in Loop: Header=BB2_34 Depth=2
	s_or_b32 exec_lo, exec_lo, s11
                                        ; implicit-def: $vgpr11
.LBB2_192:                              ;   in Loop: Header=BB2_34 Depth=2
	s_andn2_saveexec_b32 s16, s10
	s_cbranch_execz .LBB2_214
; %bb.193:                              ;   in Loop: Header=BB2_34 Depth=2
	s_mov_b32 s10, exec_lo
                                        ; implicit-def: $vgpr12
                                        ; implicit-def: $vgpr5
	v_cmpx_lt_i32_e32 13, v11
	s_xor_b32 s10, exec_lo, s10
	s_cbranch_execz .LBB2_203
; %bb.194:                              ;   in Loop: Header=BB2_34 Depth=2
	s_mov_b32 s11, exec_lo
                                        ; implicit-def: $vgpr12
	v_cmpx_lt_i32_e32 1, v50
	s_xor_b32 s11, exec_lo, s11
	s_cbranch_execz .LBB2_198
; %bb.195:                              ;   in Loop: Header=BB2_34 Depth=2
	v_mov_b32_e32 v12, v21
	s_mov_b32 s17, exec_lo
	v_cmpx_gt_i32_e32 3, v50
; %bb.196:                              ;   in Loop: Header=BB2_34 Depth=2
	v_mul_f32_e32 v12, 0.5, v21
; %bb.197:                              ;   in Loop: Header=BB2_34 Depth=2
	s_or_b32 exec_lo, exec_lo, s17
.LBB2_198:                              ;   in Loop: Header=BB2_34 Depth=2
	s_or_saveexec_b32 s11, s11
	v_mov_b32_e32 v5, v22
	s_xor_b32 exec_lo, exec_lo, s11
	s_cbranch_execz .LBB2_202
; %bb.199:                              ;   in Loop: Header=BB2_34 Depth=2
	s_mov_b32 s17, exec_lo
	v_cmpx_ne_u32_e32 1, v50
	s_xor_b32 s17, exec_lo, s17
	s_or_saveexec_b32 s17, s17
	v_mul_f32_e32 v12, 0.5, v21
	s_xor_b32 exec_lo, exec_lo, s17
; %bb.200:                              ;   in Loop: Header=BB2_34 Depth=2
	v_mov_b32_e32 v12, v21
; %bb.201:                              ;   in Loop: Header=BB2_34 Depth=2
	s_or_b32 exec_lo, exec_lo, s17
	v_mov_b32_e32 v5, v51
.LBB2_202:                              ;   in Loop: Header=BB2_34 Depth=2
	s_or_b32 exec_lo, exec_lo, s11
.LBB2_203:                              ;   in Loop: Header=BB2_34 Depth=2
	s_andn2_saveexec_b32 s17, s10
	s_cbranch_execz .LBB2_213
; %bb.204:                              ;   in Loop: Header=BB2_34 Depth=2
	global_load_dword v0, v[9:10], off
                                        ; implicit-def: $vgpr12
                                        ; implicit-def: $vgpr11
	s_waitcnt vmcnt(0)
	v_cmp_lt_f32_e32 vcc_lo, 0.5, v0
	v_cndmask_b32_e64 v0, 0x40490fdb, 0, vcc_lo
	v_add_f32_e32 v0, v54, v0
	v_and_b32_e32 v3, 0x7fffffff, v0
	v_cmp_ngt_f32_e64 s19, 0x48000000, |v0|
	v_lshrrev_b32_e32 v5, 23, v3
	v_and_or_b32 v19, v3, s47, 0x800000
	v_add_nc_u32_e32 v20, 0xffffff88, v5
	s_and_saveexec_b32 s10, s19
	s_xor_b32 s21, exec_lo, s10
	s_cbranch_execz .LBB2_206
; %bb.205:                              ;   in Loop: Header=BB2_34 Depth=2
	v_mad_u64_u32 v[11:12], null, 0xfe5163ab, v19, 0
	v_cmp_lt_u32_e32 vcc_lo, 63, v20
	v_mov_b32_e32 v5, v12
	v_cndmask_b32_e64 v12, 0, 0xffffffc0, vcc_lo
	v_mad_u64_u32 v[26:27], null, 0x3c439041, v19, v[5:6]
	v_add_nc_u32_e32 v12, v12, v20
	v_cmp_lt_u32_e64 s10, 31, v12
	v_mov_b32_e32 v5, v27
	v_cndmask_b32_e64 v23, 0, 0xffffffe0, s10
	v_mad_u64_u32 v[29:30], null, 0xdb629599, v19, v[5:6]
	v_add_nc_u32_e32 v12, v23, v12
	v_mov_b32_e32 v5, v30
	v_cmp_lt_u32_e64 s11, 31, v12
	v_cndmask_b32_e32 v11, v29, v11, vcc_lo
	v_mad_u64_u32 v[32:33], null, 0xf534ddc0, v19, v[5:6]
	v_mov_b32_e32 v5, v33
	v_mad_u64_u32 v[36:37], null, 0xfc2757d1, v19, v[5:6]
	v_mov_b32_e32 v5, v37
	v_cndmask_b32_e32 v33, v36, v29, vcc_lo
	v_mad_u64_u32 v[37:38], null, 0x4e441529, v19, v[5:6]
	v_mov_b32_e32 v5, v38
	v_cndmask_b32_e32 v23, v37, v32, vcc_lo
	v_mad_u64_u32 v[43:44], null, 0xa2f9836e, v19, v[5:6]
	v_cndmask_b32_e64 v5, 0, 0xffffffe0, s11
	v_add_nc_u32_e32 v5, v5, v12
	v_cndmask_b32_e32 v27, v43, v36, vcc_lo
	v_cndmask_b32_e32 v30, v44, v37, vcc_lo
	;; [unrolled: 1-line block ×3, first 2 shown]
	v_cmp_eq_u32_e32 vcc_lo, 0, v5
	v_cndmask_b32_e64 v26, v27, v23, s10
	v_cndmask_b32_e64 v27, v30, v27, s10
	;; [unrolled: 1-line block ×3, first 2 shown]
	v_sub_nc_u32_e32 v30, 32, v5
	v_cndmask_b32_e64 v32, v33, v12, s10
	v_cndmask_b32_e64 v11, v12, v11, s10
	;; [unrolled: 1-line block ×6, first 2 shown]
	v_alignbit_b32 v33, v27, v26, v30
	v_alignbit_b32 v29, v26, v23, v30
	;; [unrolled: 1-line block ×3, first 2 shown]
	v_cndmask_b32_e32 v5, v33, v27, vcc_lo
	v_cndmask_b32_e32 v12, v29, v26, vcc_lo
	v_cndmask_b32_e32 v23, v30, v23, vcc_lo
	v_bfe_u32 v26, v5, 29, 1
	v_alignbit_b32 v27, v5, v12, 30
	v_alignbit_b32 v12, v12, v23, 30
	;; [unrolled: 1-line block ×3, first 2 shown]
	v_sub_nc_u32_e32 v29, 0, v26
	v_xor_b32_e32 v27, v27, v29
	v_xor_b32_e32 v12, v12, v29
	;; [unrolled: 1-line block ×3, first 2 shown]
	v_lshrrev_b32_e32 v29, 29, v5
	v_lshrrev_b32_e32 v5, 30, v5
	v_ffbh_u32_e32 v30, v27
	v_min_u32_e32 v30, 32, v30
	v_sub_nc_u32_e32 v23, 31, v30
	v_lshlrev_b32_e32 v32, 23, v30
	v_alignbit_b32 v27, v27, v12, v23
	v_alignbit_b32 v11, v12, v11, v23
	v_lshlrev_b32_e32 v12, 31, v29
	v_alignbit_b32 v23, v27, v11, 9
	v_or_b32_e32 v29, 0.5, v12
	v_lshrrev_b32_e32 v27, 9, v27
	v_or_b32_e32 v12, 0x33000000, v12
	v_ffbh_u32_e32 v33, v23
	v_sub_nc_u32_e32 v29, v29, v32
	v_min_u32_e32 v32, 32, v33
	v_or_b32_e32 v27, v27, v29
	v_not_b32_e32 v29, v32
	v_mul_f32_e32 v33, 0x3fc90fda, v27
	v_add_lshl_u32 v30, v32, v30, 23
	v_alignbit_b32 v11, v23, v11, v29
	v_fma_f32 v23, 0x3fc90fda, v27, -v33
	v_sub_nc_u32_e32 v12, v12, v30
	v_lshrrev_b32_e32 v11, 9, v11
	v_fmac_f32_e32 v23, 0x33a22168, v27
	v_or_b32_e32 v11, v12, v11
	v_add_nc_u32_e32 v12, v26, v5
	v_fmac_f32_e32 v23, 0x3fc90fda, v11
	v_add_f32_e32 v11, v33, v23
.LBB2_206:                              ;   in Loop: Header=BB2_34 Depth=2
	s_or_saveexec_b32 s10, s21
	v_mul_f32_e64 v5, 0x3f22f983, |v0|
	v_rndne_f32_e32 v5, v5
	s_xor_b32 exec_lo, exec_lo, s10
; %bb.207:                              ;   in Loop: Header=BB2_34 Depth=2
	v_fma_f32 v11, 0xbfc90fda, v5, |v0|
	v_cvt_i32_f32_e32 v12, v5
	v_fmac_f32_e32 v11, 0xb3a22168, v5
	v_fmac_f32_e32 v11, 0xa7c234c4, v5
; %bb.208:                              ;   in Loop: Header=BB2_34 Depth=2
	s_or_b32 exec_lo, exec_lo, s10
                                        ; implicit-def: $vgpr23
                                        ; implicit-def: $vgpr26
	s_and_saveexec_b32 s10, s19
	s_xor_b32 s19, exec_lo, s10
	s_cbranch_execz .LBB2_210
; %bb.209:                              ;   in Loop: Header=BB2_34 Depth=2
	v_mad_u64_u32 v[26:27], null, 0xfe5163ab, v19, 0
	v_cmp_lt_u32_e32 vcc_lo, 63, v20
	v_cndmask_b32_e64 v23, 0, 0xffffffc0, vcc_lo
	v_mov_b32_e32 v5, v27
	v_add_nc_u32_e32 v20, v23, v20
	v_mad_u64_u32 v[29:30], null, 0x3c439041, v19, v[5:6]
	v_cmp_lt_u32_e64 s10, 31, v20
	v_mov_b32_e32 v5, v30
	v_cndmask_b32_e64 v23, 0, 0xffffffe0, s10
	v_mad_u64_u32 v[32:33], null, 0xdb629599, v19, v[5:6]
	v_add_nc_u32_e32 v23, v23, v20
	v_cmp_lt_u32_e64 s11, 31, v23
	v_mov_b32_e32 v5, v33
	v_cndmask_b32_e32 v26, v32, v26, vcc_lo
	v_mad_u64_u32 v[36:37], null, 0xf534ddc0, v19, v[5:6]
	v_mov_b32_e32 v5, v37
	v_mad_u64_u32 v[37:38], null, 0xfc2757d1, v19, v[5:6]
	v_mov_b32_e32 v5, v38
	v_cndmask_b32_e32 v30, v37, v32, vcc_lo
	v_mad_u64_u32 v[43:44], null, 0x4e441529, v19, v[5:6]
	v_mov_b32_e32 v5, v44
	v_cndmask_b32_e32 v27, v43, v36, vcc_lo
	v_mad_u64_u32 v[19:20], null, 0xa2f9836e, v19, v[5:6]
	v_cndmask_b32_e64 v5, 0, 0xffffffe0, s11
	v_add_nc_u32_e32 v5, v5, v23
	v_cndmask_b32_e32 v19, v19, v37, vcc_lo
	v_cndmask_b32_e32 v20, v20, v43, vcc_lo
	;; [unrolled: 1-line block ×3, first 2 shown]
	v_cmp_eq_u32_e32 vcc_lo, 0, v5
	v_cndmask_b32_e64 v29, v19, v27, s10
	v_cndmask_b32_e64 v19, v20, v19, s10
	;; [unrolled: 1-line block ×3, first 2 shown]
	v_sub_nc_u32_e32 v27, 32, v5
	v_cndmask_b32_e64 v30, v30, v23, s10
	v_cndmask_b32_e64 v19, v19, v29, s11
	v_cndmask_b32_e64 v29, v29, v20, s11
	v_cndmask_b32_e64 v20, v20, v30, s11
	v_alignbit_b32 v33, v19, v29, v27
	v_alignbit_b32 v32, v29, v20, v27
	v_cndmask_b32_e32 v5, v33, v19, vcc_lo
	v_cndmask_b32_e64 v19, v23, v26, s10
	v_cndmask_b32_e32 v23, v32, v29, vcc_lo
	v_bfe_u32 v29, v5, 29, 1
	v_cndmask_b32_e64 v19, v30, v19, s11
	v_alignbit_b32 v26, v5, v23, 30
	v_sub_nc_u32_e32 v30, 0, v29
	v_alignbit_b32 v27, v20, v19, v27
	v_xor_b32_e32 v26, v26, v30
	v_cndmask_b32_e32 v20, v27, v20, vcc_lo
	v_ffbh_u32_e32 v27, v26
	v_alignbit_b32 v23, v23, v20, 30
	v_alignbit_b32 v19, v20, v19, 30
	v_min_u32_e32 v27, 32, v27
	v_xor_b32_e32 v20, v23, v30
	v_xor_b32_e32 v19, v19, v30
	v_lshrrev_b32_e32 v30, 29, v5
	v_lshrrev_b32_e32 v5, 30, v5
	v_sub_nc_u32_e32 v23, 31, v27
	v_lshlrev_b32_e32 v32, 23, v27
	v_alignbit_b32 v26, v26, v20, v23
	v_alignbit_b32 v19, v20, v19, v23
	v_lshlrev_b32_e32 v20, 31, v30
	v_alignbit_b32 v23, v26, v19, 9
	v_or_b32_e32 v30, 0.5, v20
	v_lshrrev_b32_e32 v26, 9, v26
	v_or_b32_e32 v20, 0x33000000, v20
	v_ffbh_u32_e32 v33, v23
	v_sub_nc_u32_e32 v30, v30, v32
	v_min_u32_e32 v32, 32, v33
	v_or_b32_e32 v26, v26, v30
	v_not_b32_e32 v30, v32
	v_mul_f32_e32 v33, 0x3fc90fda, v26
	v_add_lshl_u32 v27, v32, v27, 23
	v_alignbit_b32 v19, v23, v19, v30
	v_fma_f32 v23, 0x3fc90fda, v26, -v33
	v_sub_nc_u32_e32 v20, v20, v27
	v_lshrrev_b32_e32 v19, 9, v19
	v_fmac_f32_e32 v23, 0x33a22168, v26
	v_or_b32_e32 v19, v20, v19
	v_fmac_f32_e32 v23, 0x3fc90fda, v19
	v_add_f32_e32 v26, v33, v23
	v_add_nc_u32_e32 v23, v29, v5
                                        ; implicit-def: $vgpr5
	s_andn2_saveexec_b32 s10, s19
	s_cbranch_execnz .LBB2_211
	s_branch .LBB2_212
.LBB2_210:                              ;   in Loop: Header=BB2_34 Depth=2
	s_andn2_saveexec_b32 s10, s19
.LBB2_211:                              ;   in Loop: Header=BB2_34 Depth=2
	v_fma_f32 v26, 0xbfc90fda, v5, |v0|
	v_cvt_i32_f32_e32 v23, v5
	v_fmac_f32_e32 v26, 0xb3a22168, v5
	v_fmac_f32_e32 v26, 0xa7c234c4, v5
.LBB2_212:                              ;   in Loop: Header=BB2_34 Depth=2
	s_or_b32 exec_lo, exec_lo, s10
	v_mul_f32_e32 v5, v11, v11
	v_fmaak_f32 v19, s49, v5, 0x3c0881c4
	v_fmaak_f32 v19, v5, v19, 0xbe2aaa9d
	v_mul_f32_e32 v19, v5, v19
	v_fmac_f32_e32 v11, v11, v19
	v_fmaak_f32 v19, s50, v5, 0xbab64f3b
	v_fmaak_f32 v19, v5, v19, 0x3d2aabf7
	;; [unrolled: 1-line block ×3, first 2 shown]
	v_fma_f32 v5, v5, v19, 1.0
	v_and_b32_e32 v19, 1, v12
	v_cmp_eq_u32_e32 vcc_lo, 0, v19
	v_cndmask_b32_e64 v5, -v11, v5, vcc_lo
	v_lshlrev_b32_e32 v11, 30, v12
	v_cmp_class_f32_e64 vcc_lo, v0, 0x1f8
	v_xor_b32_e32 v0, v3, v0
	v_and_b32_e32 v11, 0x80000000, v11
	v_xor_b32_e32 v5, v11, v5
	v_mul_f32_e32 v11, v26, v26
	v_cndmask_b32_e32 v5, 0x7fc00000, v5, vcc_lo
	v_fmaak_f32 v12, s49, v11, 0x3c0881c4
	v_mul_f32_e32 v5, v53, v5
	v_fmaak_f32 v12, v11, v12, 0xbe2aaa9d
	v_mul_f32_e32 v12, v11, v12
	v_fmac_f32_e32 v26, v26, v12
	v_fmaak_f32 v12, s50, v11, 0xbab64f3b
	v_fmaak_f32 v12, v11, v12, 0x3d2aabf7
	;; [unrolled: 1-line block ×3, first 2 shown]
	v_fma_f32 v11, v11, v12, 1.0
	v_and_b32_e32 v12, 1, v23
	v_cmp_eq_u32_e64 s10, 0, v12
	v_lshlrev_b32_e32 v12, 30, v23
	v_cndmask_b32_e64 v11, v11, v26, s10
	v_and_b32_e32 v12, 0x80000000, v12
	v_xor3_b32 v0, v0, v12, v11
	v_cndmask_b32_e32 v0, 0x7fc00000, v0, vcc_lo
	v_mul_f32_e32 v12, v53, v0
.LBB2_213:                              ;   in Loop: Header=BB2_34 Depth=2
	s_or_b32 exec_lo, exec_lo, s17
.LBB2_214:                              ;   in Loop: Header=BB2_34 Depth=2
	s_or_b32 exec_lo, exec_lo, s16
                                        ; implicit-def: $vgpr11
.LBB2_215:                              ;   in Loop: Header=BB2_34 Depth=2
	s_andn2_saveexec_b32 s10, s15
	s_cbranch_execz .LBB2_225
; %bb.216:                              ;   in Loop: Header=BB2_34 Depth=2
	s_mov_b32 s11, exec_lo
                                        ; implicit-def: $vgpr12
                                        ; implicit-def: $vgpr5
	v_cmpx_lt_i32_e32 10, v11
	s_xor_b32 s11, exec_lo, s11
	s_cbranch_execz .LBB2_220
; %bb.217:                              ;   in Loop: Header=BB2_34 Depth=2
	s_mov_b32 s15, exec_lo
	v_cmpx_lt_i32_e32 11, v11
	s_xor_b32 s15, exec_lo, s15
	s_or_saveexec_b32 s15, s15
	v_mov_b32_e32 v12, v74
	v_mov_b32_e32 v5, v73
	s_xor_b32 exec_lo, exec_lo, s15
; %bb.218:                              ;   in Loop: Header=BB2_34 Depth=2
	v_mov_b32_e32 v12, v76
	v_mov_b32_e32 v5, v75
; %bb.219:                              ;   in Loop: Header=BB2_34 Depth=2
	s_or_b32 exec_lo, exec_lo, s15
                                        ; implicit-def: $vgpr11
.LBB2_220:                              ;   in Loop: Header=BB2_34 Depth=2
	s_andn2_saveexec_b32 s11, s11
	s_cbranch_execz .LBB2_224
; %bb.221:                              ;   in Loop: Header=BB2_34 Depth=2
	s_mov_b32 s15, exec_lo
	v_cmpx_lt_i32_e32 9, v11
	s_xor_b32 s15, exec_lo, s15
	s_or_saveexec_b32 s15, s15
	v_mul_f32_e32 v12, v42, v65
	v_mov_b32_e32 v5, v77
	s_xor_b32 exec_lo, exec_lo, s15
; %bb.222:                              ;   in Loop: Header=BB2_34 Depth=2
	v_mov_b32_e32 v12, v79
	v_mov_b32_e32 v5, v78
; %bb.223:                              ;   in Loop: Header=BB2_34 Depth=2
	s_or_b32 exec_lo, exec_lo, s15
.LBB2_224:                              ;   in Loop: Header=BB2_34 Depth=2
	s_or_b32 exec_lo, exec_lo, s11
.LBB2_225:                              ;   in Loop: Header=BB2_34 Depth=2
	s_or_b32 exec_lo, exec_lo, s10
                                        ; implicit-def: $vgpr11
                                        ; implicit-def: $vgpr3
                                        ; implicit-def: $vgpr0
.LBB2_226:                              ;   in Loop: Header=BB2_34 Depth=2
	s_andn2_saveexec_b32 s10, s14
	s_cbranch_execz .LBB2_31
; %bb.227:                              ;   in Loop: Header=BB2_34 Depth=2
	s_mov_b32 s11, exec_lo
                                        ; implicit-def: $vgpr12
                                        ; implicit-def: $vgpr5
	v_cmpx_lt_i32_e32 3, v11
	s_xor_b32 s11, exec_lo, s11
	s_cbranch_execz .LBB2_241
; %bb.228:                              ;   in Loop: Header=BB2_34 Depth=2
	s_mov_b32 s14, exec_lo
                                        ; implicit-def: $vgpr12
                                        ; implicit-def: $vgpr5
	v_cmpx_lt_i32_e32 5, v11
	s_xor_b32 s14, exec_lo, s14
	s_cbranch_execz .LBB2_236
; %bb.229:                              ;   in Loop: Header=BB2_34 Depth=2
	s_mov_b32 s15, exec_lo
                                        ; implicit-def: $vgpr12
                                        ; implicit-def: $vgpr5
	v_cmpx_lt_i32_e32 6, v11
	s_xor_b32 s15, exec_lo, s15
	s_cbranch_execz .LBB2_233
; %bb.230:                              ;   in Loop: Header=BB2_34 Depth=2
	s_mov_b32 s16, exec_lo
	v_cmpx_lt_i32_e32 7, v11
	s_xor_b32 s16, exec_lo, s16
	s_or_saveexec_b32 s16, s16
	v_mov_b32_e32 v12, v81
	v_mov_b32_e32 v5, v80
	s_xor_b32 exec_lo, exec_lo, s16
; %bb.231:                              ;   in Loop: Header=BB2_34 Depth=2
	v_mov_b32_e32 v12, v83
	v_mov_b32_e32 v5, v82
; %bb.232:                              ;   in Loop: Header=BB2_34 Depth=2
	s_or_b32 exec_lo, exec_lo, s16
.LBB2_233:                              ;   in Loop: Header=BB2_34 Depth=2
	s_andn2_saveexec_b32 s15, s15
; %bb.234:                              ;   in Loop: Header=BB2_34 Depth=2
	v_mov_b32_e32 v12, v85
	v_mov_b32_e32 v5, v84
; %bb.235:                              ;   in Loop: Header=BB2_34 Depth=2
	s_or_b32 exec_lo, exec_lo, s15
                                        ; implicit-def: $vgpr11
.LBB2_236:                              ;   in Loop: Header=BB2_34 Depth=2
	s_andn2_saveexec_b32 s14, s14
	s_cbranch_execz .LBB2_240
; %bb.237:                              ;   in Loop: Header=BB2_34 Depth=2
	s_mov_b32 s15, exec_lo
	v_cmpx_lt_i32_e32 4, v11
	s_xor_b32 s15, exec_lo, s15
	s_or_saveexec_b32 s15, s15
	v_add_f32_e32 v12, -1.0, v42
	v_mov_b32_e32 v5, v55
	s_xor_b32 exec_lo, exec_lo, s15
; %bb.238:                              ;   in Loop: Header=BB2_34 Depth=2
	v_mov_b32_e32 v12, v57
	v_mov_b32_e32 v5, v56
; %bb.239:                              ;   in Loop: Header=BB2_34 Depth=2
	s_or_b32 exec_lo, exec_lo, s15
.LBB2_240:                              ;   in Loop: Header=BB2_34 Depth=2
	s_or_b32 exec_lo, exec_lo, s14
                                        ; implicit-def: $vgpr11
                                        ; implicit-def: $vgpr3
                                        ; implicit-def: $vgpr0
.LBB2_241:                              ;   in Loop: Header=BB2_34 Depth=2
	s_andn2_saveexec_b32 s11, s11
	s_cbranch_execz .LBB2_30
; %bb.242:                              ;   in Loop: Header=BB2_34 Depth=2
	s_mov_b32 s14, exec_lo
                                        ; implicit-def: $vgpr12
                                        ; implicit-def: $vgpr5
	v_cmpx_lt_i32_e32 1, v11
	s_xor_b32 s14, exec_lo, s14
	s_cbranch_execz .LBB2_246
; %bb.243:                              ;   in Loop: Header=BB2_34 Depth=2
	s_mov_b32 s15, exec_lo
	v_cmpx_lt_i32_e32 2, v11
	s_xor_b32 s15, exec_lo, s15
	s_or_saveexec_b32 s15, s15
	v_mov_b32_e32 v12, v87
	v_mov_b32_e32 v5, v86
	s_xor_b32 exec_lo, exec_lo, s15
; %bb.244:                              ;   in Loop: Header=BB2_34 Depth=2
	v_mov_b32_e32 v12, v59
	v_mov_b32_e32 v5, v58
; %bb.245:                              ;   in Loop: Header=BB2_34 Depth=2
	s_or_b32 exec_lo, exec_lo, s15
                                        ; implicit-def: $vgpr3
                                        ; implicit-def: $vgpr0
                                        ; implicit-def: $vgpr11
.LBB2_246:                              ;   in Loop: Header=BB2_34 Depth=2
	s_andn2_saveexec_b32 s14, s14
	s_cbranch_execz .LBB2_29
; %bb.247:                              ;   in Loop: Header=BB2_34 Depth=2
	s_mov_b32 s15, exec_lo
	v_cmpx_lt_i32_e32 0, v11
	s_xor_b32 s15, exec_lo, s15
; %bb.248:                              ;   in Loop: Header=BB2_34 Depth=2
                                        ; implicit-def: $vgpr3
                                        ; implicit-def: $vgpr0
                                        ; implicit-def: $vgpr11
; %bb.249:                              ;   in Loop: Header=BB2_34 Depth=2
	s_or_saveexec_b32 s15, s15
	v_mov_b32_e32 v12, v64
	v_mov_b32_e32 v5, v60
	s_xor_b32 exec_lo, exec_lo, s15
	s_cbranch_execz .LBB2_28
; %bb.250:                              ;   in Loop: Header=BB2_34 Depth=2
	s_mov_b32 s16, exec_lo
	v_cmpx_eq_u32_e32 0, v11
	s_cbranch_execz .LBB2_27
; %bb.251:                              ;   in Loop: Header=BB2_34 Depth=2
	s_waitcnt vmcnt(1)
	v_mov_b32_e32 v3, v21
	s_waitcnt vmcnt(0)
	v_mov_b32_e32 v0, v22
	s_branch .LBB2_27
.LBB2_252:
	s_endpgm
	.section	.rodata,"a",@progbits
	.p2align	6, 0x0
	.amdhsa_kernel _Z22kernel_generate_pointsP15HIP_vector_typeIfLj3EEPS_IsLj2EEPsPKtiPKf14ConstMemParams
		.amdhsa_group_segment_fixed_size 0
		.amdhsa_private_segment_fixed_size 60
		.amdhsa_kernarg_size 2232
		.amdhsa_user_sgpr_count 6
		.amdhsa_user_sgpr_private_segment_buffer 1
		.amdhsa_user_sgpr_dispatch_ptr 0
		.amdhsa_user_sgpr_queue_ptr 0
		.amdhsa_user_sgpr_kernarg_segment_ptr 1
		.amdhsa_user_sgpr_dispatch_id 0
		.amdhsa_user_sgpr_flat_scratch_init 0
		.amdhsa_user_sgpr_private_segment_size 0
		.amdhsa_wavefront_size32 1
		.amdhsa_uses_dynamic_stack 0
		.amdhsa_system_sgpr_private_segment_wavefront_offset 1
		.amdhsa_system_sgpr_workgroup_id_x 1
		.amdhsa_system_sgpr_workgroup_id_y 0
		.amdhsa_system_sgpr_workgroup_id_z 0
		.amdhsa_system_sgpr_workgroup_info 0
		.amdhsa_system_vgpr_workitem_id 0
		.amdhsa_next_free_vgpr 128
		.amdhsa_next_free_sgpr 60
		.amdhsa_reserve_vcc 1
		.amdhsa_reserve_flat_scratch 0
		.amdhsa_float_round_mode_32 0
		.amdhsa_float_round_mode_16_64 0
		.amdhsa_float_denorm_mode_32 3
		.amdhsa_float_denorm_mode_16_64 3
		.amdhsa_dx10_clamp 1
		.amdhsa_ieee_mode 1
		.amdhsa_fp16_overflow 0
		.amdhsa_workgroup_processor_mode 1
		.amdhsa_memory_ordered 1
		.amdhsa_forward_progress 1
		.amdhsa_shared_vgpr_count 0
		.amdhsa_exception_fp_ieee_invalid_op 0
		.amdhsa_exception_fp_denorm_src 0
		.amdhsa_exception_fp_ieee_div_zero 0
		.amdhsa_exception_fp_ieee_overflow 0
		.amdhsa_exception_fp_ieee_underflow 0
		.amdhsa_exception_fp_ieee_inexact 0
		.amdhsa_exception_int_div_zero 0
	.end_amdhsa_kernel
	.text
.Lfunc_end2:
	.size	_Z22kernel_generate_pointsP15HIP_vector_typeIfLj3EEPS_IsLj2EEPsPKtiPKf14ConstMemParams, .Lfunc_end2-_Z22kernel_generate_pointsP15HIP_vector_typeIfLj3EEPS_IsLj2EEPsPKtiPKf14ConstMemParams
                                        ; -- End function
	.set _Z22kernel_generate_pointsP15HIP_vector_typeIfLj3EEPS_IsLj2EEPsPKtiPKf14ConstMemParams.num_vgpr, 128
	.set _Z22kernel_generate_pointsP15HIP_vector_typeIfLj3EEPS_IsLj2EEPsPKtiPKf14ConstMemParams.num_agpr, 0
	.set _Z22kernel_generate_pointsP15HIP_vector_typeIfLj3EEPS_IsLj2EEPsPKtiPKf14ConstMemParams.numbered_sgpr, 60
	.set _Z22kernel_generate_pointsP15HIP_vector_typeIfLj3EEPS_IsLj2EEPsPKtiPKf14ConstMemParams.num_named_barrier, 0
	.set _Z22kernel_generate_pointsP15HIP_vector_typeIfLj3EEPS_IsLj2EEPsPKtiPKf14ConstMemParams.private_seg_size, 60
	.set _Z22kernel_generate_pointsP15HIP_vector_typeIfLj3EEPS_IsLj2EEPsPKtiPKf14ConstMemParams.uses_vcc, 1
	.set _Z22kernel_generate_pointsP15HIP_vector_typeIfLj3EEPS_IsLj2EEPsPKtiPKf14ConstMemParams.uses_flat_scratch, 0
	.set _Z22kernel_generate_pointsP15HIP_vector_typeIfLj3EEPS_IsLj2EEPsPKtiPKf14ConstMemParams.has_dyn_sized_stack, 0
	.set _Z22kernel_generate_pointsP15HIP_vector_typeIfLj3EEPS_IsLj2EEPsPKtiPKf14ConstMemParams.has_recursion, 0
	.set _Z22kernel_generate_pointsP15HIP_vector_typeIfLj3EEPS_IsLj2EEPsPKtiPKf14ConstMemParams.has_indirect_call, 0
	.section	.AMDGPU.csdata,"",@progbits
; Kernel info:
; codeLenInByte = 36184
; TotalNumSgprs: 62
; NumVgprs: 128
; ScratchSize: 60
; MemoryBound: 0
; FloatMode: 240
; IeeeMode: 1
; LDSByteSize: 0 bytes/workgroup (compile time only)
; SGPRBlocks: 0
; VGPRBlocks: 15
; NumSGPRsForWavesPerEU: 62
; NumVGPRsForWavesPerEU: 128
; Occupancy: 8
; WaveLimiterHint : 0
; COMPUTE_PGM_RSRC2:SCRATCH_EN: 1
; COMPUTE_PGM_RSRC2:USER_SGPR: 6
; COMPUTE_PGM_RSRC2:TRAP_HANDLER: 0
; COMPUTE_PGM_RSRC2:TGID_X_EN: 1
; COMPUTE_PGM_RSRC2:TGID_Y_EN: 0
; COMPUTE_PGM_RSRC2:TGID_Z_EN: 0
; COMPUTE_PGM_RSRC2:TIDIG_COMP_CNT: 0
	.text
	.p2alignl 6, 3214868480
	.fill 48, 4, 3214868480
	.section	.AMDGPU.gpr_maximums,"",@progbits
	.set amdgpu.max_num_vgpr, 0
	.set amdgpu.max_num_agpr, 0
	.set amdgpu.max_num_sgpr, 0
	.text
	.type	__hip_cuid_8090b9e64af4ecb0,@object ; @__hip_cuid_8090b9e64af4ecb0
	.section	.bss,"aw",@nobits
	.globl	__hip_cuid_8090b9e64af4ecb0
__hip_cuid_8090b9e64af4ecb0:
	.byte	0                               ; 0x0
	.size	__hip_cuid_8090b9e64af4ecb0, 1

	.ident	"AMD clang version 22.0.0git (https://github.com/RadeonOpenCompute/llvm-project roc-7.2.4 26084 f58b06dce1f9c15707c5f808fd002e18c2accf7e)"
	.section	".note.GNU-stack","",@progbits
	.addrsig
	.addrsig_sym __hip_cuid_8090b9e64af4ecb0
	.amdgpu_metadata
---
amdhsa.kernels:
  - .args:
      - .address_space:  global
        .offset:         0
        .size:           8
        .value_kind:     global_buffer
      - .address_space:  global
        .offset:         8
        .size:           8
        .value_kind:     global_buffer
      - .address_space:  global
        .offset:         16
        .size:           8
        .value_kind:     global_buffer
      - .offset:         24
        .size:           4
        .value_kind:     by_value
      - .address_space:  global
        .offset:         32
        .size:           8
        .value_kind:     global_buffer
      - .address_space:  global
        .offset:         40
        .size:           8
        .value_kind:     global_buffer
      - .offset:         48
        .size:           1928
        .value_kind:     by_value
      - .offset:         1976
        .size:           4
        .value_kind:     hidden_block_count_x
      - .offset:         1980
        .size:           4
        .value_kind:     hidden_block_count_y
      - .offset:         1984
        .size:           4
        .value_kind:     hidden_block_count_z
      - .offset:         1988
        .size:           2
        .value_kind:     hidden_group_size_x
      - .offset:         1990
        .size:           2
        .value_kind:     hidden_group_size_y
      - .offset:         1992
        .size:           2
        .value_kind:     hidden_group_size_z
      - .offset:         1994
        .size:           2
        .value_kind:     hidden_remainder_x
      - .offset:         1996
        .size:           2
        .value_kind:     hidden_remainder_y
      - .offset:         1998
        .size:           2
        .value_kind:     hidden_remainder_z
      - .offset:         2016
        .size:           8
        .value_kind:     hidden_global_offset_x
      - .offset:         2024
        .size:           8
        .value_kind:     hidden_global_offset_y
      - .offset:         2032
        .size:           8
        .value_kind:     hidden_global_offset_z
      - .offset:         2040
        .size:           2
        .value_kind:     hidden_grid_dims
    .group_segment_fixed_size: 0
    .kernarg_segment_align: 8
    .kernarg_segment_size: 2232
    .language:       OpenCL C
    .language_version:
      - 2
      - 0
    .max_flat_workgroup_size: 1024
    .name:           _Z17kernel_initializeP15HIP_vector_typeIsLj2EEPsPKtiPS_IfLj2EEPKf14ConstMemParams
    .private_segment_fixed_size: 0
    .sgpr_count:     43
    .sgpr_spill_count: 0
    .symbol:         _Z17kernel_initializeP15HIP_vector_typeIsLj2EEPsPKtiPS_IfLj2EEPKf14ConstMemParams.kd
    .uniform_work_group_size: 1
    .uses_dynamic_stack: false
    .vgpr_count:     121
    .vgpr_spill_count: 0
    .wavefront_size: 32
    .workgroup_processor_mode: 1
  - .args:
      - .address_space:  global
        .offset:         0
        .size:           8
        .value_kind:     global_buffer
      - .address_space:  global
        .offset:         8
        .size:           8
        .value_kind:     global_buffer
      - .address_space:  global
        .offset:         16
        .size:           8
        .value_kind:     global_buffer
      - .offset:         24
        .size:           4
        .value_kind:     by_value
      - .address_space:  global
        .offset:         32
        .size:           8
        .value_kind:     global_buffer
      - .offset:         40
        .size:           1928
        .value_kind:     by_value
      - .offset:         1968
        .size:           4
        .value_kind:     hidden_block_count_x
      - .offset:         1972
        .size:           4
        .value_kind:     hidden_block_count_y
      - .offset:         1976
        .size:           4
        .value_kind:     hidden_block_count_z
      - .offset:         1980
        .size:           2
        .value_kind:     hidden_group_size_x
      - .offset:         1982
        .size:           2
        .value_kind:     hidden_group_size_y
      - .offset:         1984
        .size:           2
        .value_kind:     hidden_group_size_z
      - .offset:         1986
        .size:           2
        .value_kind:     hidden_remainder_x
      - .offset:         1988
        .size:           2
        .value_kind:     hidden_remainder_y
      - .offset:         1990
        .size:           2
        .value_kind:     hidden_remainder_z
      - .offset:         2008
        .size:           8
        .value_kind:     hidden_global_offset_x
      - .offset:         2016
        .size:           8
        .value_kind:     hidden_global_offset_y
      - .offset:         2024
        .size:           8
        .value_kind:     hidden_global_offset_z
      - .offset:         2032
        .size:           2
        .value_kind:     hidden_grid_dims
    .group_segment_fixed_size: 0
    .kernarg_segment_align: 8
    .kernarg_segment_size: 2224
    .language:       OpenCL C
    .language_version:
      - 2
      - 0
    .max_flat_workgroup_size: 1024
    .name:           _Z14kernel_iterateP15HIP_vector_typeIsLj2EEPsPKtiPKf14ConstMemParams
    .private_segment_fixed_size: 0
    .sgpr_count:     39
    .sgpr_spill_count: 0
    .symbol:         _Z14kernel_iterateP15HIP_vector_typeIsLj2EEPsPKtiPKf14ConstMemParams.kd
    .uniform_work_group_size: 1
    .uses_dynamic_stack: false
    .vgpr_count:     125
    .vgpr_spill_count: 0
    .wavefront_size: 32
    .workgroup_processor_mode: 1
  - .args:
      - .address_space:  global
        .offset:         0
        .size:           8
        .value_kind:     global_buffer
      - .address_space:  global
        .offset:         8
        .size:           8
        .value_kind:     global_buffer
      - .address_space:  global
        .offset:         16
        .size:           8
        .value_kind:     global_buffer
      - .address_space:  global
        .offset:         24
        .size:           8
        .value_kind:     global_buffer
      - .offset:         32
        .size:           4
        .value_kind:     by_value
      - .address_space:  global
        .offset:         40
        .size:           8
        .value_kind:     global_buffer
      - .offset:         48
        .size:           1928
        .value_kind:     by_value
      - .offset:         1976
        .size:           4
        .value_kind:     hidden_block_count_x
      - .offset:         1980
        .size:           4
        .value_kind:     hidden_block_count_y
      - .offset:         1984
        .size:           4
        .value_kind:     hidden_block_count_z
      - .offset:         1988
        .size:           2
        .value_kind:     hidden_group_size_x
      - .offset:         1990
        .size:           2
        .value_kind:     hidden_group_size_y
      - .offset:         1992
        .size:           2
        .value_kind:     hidden_group_size_z
      - .offset:         1994
        .size:           2
        .value_kind:     hidden_remainder_x
      - .offset:         1996
        .size:           2
        .value_kind:     hidden_remainder_y
      - .offset:         1998
        .size:           2
        .value_kind:     hidden_remainder_z
      - .offset:         2016
        .size:           8
        .value_kind:     hidden_global_offset_x
      - .offset:         2024
        .size:           8
        .value_kind:     hidden_global_offset_y
      - .offset:         2032
        .size:           8
        .value_kind:     hidden_global_offset_z
      - .offset:         2040
        .size:           2
        .value_kind:     hidden_grid_dims
    .group_segment_fixed_size: 0
    .kernarg_segment_align: 8
    .kernarg_segment_size: 2232
    .language:       OpenCL C
    .language_version:
      - 2
      - 0
    .max_flat_workgroup_size: 1024
    .name:           _Z22kernel_generate_pointsP15HIP_vector_typeIfLj3EEPS_IsLj2EEPsPKtiPKf14ConstMemParams
    .private_segment_fixed_size: 60
    .sgpr_count:     62
    .sgpr_spill_count: 0
    .symbol:         _Z22kernel_generate_pointsP15HIP_vector_typeIfLj3EEPS_IsLj2EEPsPKtiPKf14ConstMemParams.kd
    .uniform_work_group_size: 1
    .uses_dynamic_stack: false
    .vgpr_count:     128
    .vgpr_spill_count: 14
    .wavefront_size: 32
    .workgroup_processor_mode: 1
amdhsa.target:   amdgcn-amd-amdhsa--gfx1030
amdhsa.version:
  - 1
  - 2
...

	.end_amdgpu_metadata
